;; amdgpu-corpus repo=ROCm/rocFFT kind=compiled arch=gfx950 opt=O3
	.text
	.amdgcn_target "amdgcn-amd-amdhsa--gfx950"
	.amdhsa_code_object_version 6
	.protected	bluestein_single_fwd_len1156_dim1_dp_op_CI_CI ; -- Begin function bluestein_single_fwd_len1156_dim1_dp_op_CI_CI
	.globl	bluestein_single_fwd_len1156_dim1_dp_op_CI_CI
	.p2align	8
	.type	bluestein_single_fwd_len1156_dim1_dp_op_CI_CI,@function
bluestein_single_fwd_len1156_dim1_dp_op_CI_CI: ; @bluestein_single_fwd_len1156_dim1_dp_op_CI_CI
; %bb.0:
	s_load_dwordx4 s[16:19], s[0:1], 0x28
	v_mul_u32_u24_e32 v1, 0x3c4, v0
	v_lshrrev_b32_e32 v2, 16, v1
	v_mad_u64_u32 v[22:23], s[2:3], s2, 3, v[2:3]
	v_mov_b32_e32 v21, 0
	v_mov_b32_e32 v23, v21
	s_waitcnt lgkmcnt(0)
	v_cmp_gt_u64_e32 vcc, s[16:17], v[22:23]
	s_and_saveexec_b64 s[2:3], vcc
	s_cbranch_execz .LBB0_18
; %bb.1:
	s_load_dwordx4 s[4:7], s[0:1], 0x18
	s_load_dwordx4 s[8:11], s[0:1], 0x0
	v_mul_lo_u16_e32 v1, 0x44, v2
	v_sub_u16_e32 v20, v0, v1
	v_mov_b32_e32 v4, s18
	s_waitcnt lgkmcnt(0)
	s_load_dwordx4 s[12:15], s[4:5], 0x0
	v_mov_b32_e32 v5, s19
	v_lshlrev_b32_e32 v12, 4, v20
	v_mov_b32_e32 v13, v21
	v_lshl_add_u64 v[14:15], s[8:9], 0, v[12:13]
	s_waitcnt lgkmcnt(0)
	v_mad_u64_u32 v[0:1], s[2:3], s14, v22, 0
	v_mov_b32_e32 v2, v1
	v_mad_u64_u32 v[2:3], s[2:3], s15, v22, v[2:3]
	v_mov_b32_e32 v1, v2
	;; [unrolled: 2-line block ×4, first 2 shown]
	v_lshl_add_u64 v[0:1], v[0:1], 4, v[4:5]
	s_load_dwordx2 s[14:15], s[0:1], 0x38
	s_mov_b32 s0, 0xaaaaaaab
	v_lshl_add_u64 v[0:1], v[2:3], 4, v[0:1]
	v_mul_hi_u32 v2, v22, s0
	v_lshrrev_b32_e32 v2, 1, v2
	v_lshl_add_u32 v2, v2, 1, v2
	v_sub_u32_e32 v2, v22, v2
	s_movk_i32 s1, 0x1000
	v_mul_u32_u24_e32 v2, 0x484, v2
	v_lshlrev_b32_e32 v66, 4, v2
	v_add_co_u32_e32 v2, vcc, s1, v14
	v_mov_b32_e32 v16, 0x440
	s_movk_i32 s2, 0x2000
	v_addc_co_u32_e32 v3, vcc, 0, v15, vcc
	global_load_dwordx4 v[68:71], v[0:1], off
	v_add_co_u32_e32 v18, vcc, s2, v14
	s_mul_i32 s0, s13, 0x440
	v_mad_u64_u32 v[0:1], s[2:3], s12, v16, v[0:1]
	v_add_u32_e32 v1, s0, v1
	global_load_dwordx4 v[38:41], v12, s[8:9]
	s_load_dwordx4 s[4:7], s[6:7], 0x0
	global_load_dwordx4 v[148:151], v12, s[8:9] offset:1088
	global_load_dwordx4 v[144:147], v12, s[8:9] offset:2176
	;; [unrolled: 1-line block ×3, first 2 shown]
	v_addc_co_u32_e32 v19, vcc, 0, v15, vcc
	global_load_dwordx4 v[136:139], v[2:3], off offset:256
	global_load_dwordx4 v[132:135], v[2:3], off offset:1344
	;; [unrolled: 1-line block ×6, first 2 shown]
	v_mad_u64_u32 v[2:3], s[2:3], s12, v16, v[0:1]
	v_add_u32_e32 v3, s0, v3
	global_load_dwordx4 v[24:27], v[0:1], off
	global_load_dwordx4 v[28:31], v[2:3], off
	v_mad_u64_u32 v[0:1], s[2:3], s12, v16, v[2:3]
	v_add_u32_e32 v1, s0, v1
	v_mad_u64_u32 v[2:3], s[2:3], s12, v16, v[0:1]
	v_add_u32_e32 v3, s0, v3
	global_load_dwordx4 v[32:35], v[0:1], off
	global_load_dwordx4 v[72:75], v[2:3], off
	v_mad_u64_u32 v[0:1], s[2:3], s12, v16, v[2:3]
	v_add_u32_e32 v1, s0, v1
	global_load_dwordx4 v[76:79], v[0:1], off
	v_mad_u64_u32 v[0:1], s[2:3], s12, v16, v[0:1]
	v_add_u32_e32 v1, s0, v1
	;; [unrolled: 3-line block ×4, first 2 shown]
	v_mad_u64_u32 v[36:37], s[2:3], s12, v16, v[0:1]
	v_add_u32_e32 v37, s0, v37
	global_load_dwordx4 v[4:7], v[0:1], off
	s_movk_i32 s1, 0x3000
	global_load_dwordx4 v[0:3], v[36:37], off
	v_mad_u64_u32 v[36:37], s[2:3], s12, v16, v[36:37]
	v_add_u32_e32 v37, s0, v37
	global_load_dwordx4 v[84:87], v[36:37], off
	v_mad_u64_u32 v[36:37], s[2:3], s12, v16, v[36:37]
	v_add_u32_e32 v37, s0, v37
	global_load_dwordx4 v[92:95], v[36:37], off
	global_load_dwordx4 v[120:123], v[18:19], off offset:2688
	global_load_dwordx4 v[54:57], v[18:19], off offset:3776
	v_mad_u64_u32 v[18:19], s[2:3], s12, v16, v[36:37]
	v_add_u32_e32 v19, s0, v19
	global_load_dwordx4 v[96:99], v[18:19], off
	v_mad_u64_u32 v[18:19], s[2:3], s12, v16, v[18:19]
	v_add_co_u32_e32 v36, vcc, s1, v14
	v_add_u32_e32 v19, s0, v19
	s_nop 0
	v_addc_co_u32_e32 v37, vcc, 0, v15, vcc
	global_load_dwordx4 v[100:103], v[18:19], off
	global_load_dwordx4 v[128:131], v[36:37], off offset:768
	global_load_dwordx4 v[62:65], v[36:37], off offset:1856
	v_mad_u64_u32 v[18:19], s[2:3], s12, v16, v[18:19]
	v_add_u32_e32 v19, s0, v19
	global_load_dwordx4 v[104:107], v[18:19], off
	v_mad_u64_u32 v[18:19], s[2:3], s12, v16, v[18:19]
	v_add_u32_e32 v19, s0, v19
	v_mad_u64_u32 v[16:17], s[2:3], s12, v16, v[18:19]
	global_load_dwordx4 v[108:111], v[18:19], off
	global_load_dwordx4 v[124:127], v[36:37], off offset:2944
	global_load_dwordx4 v[58:61], v[36:37], off offset:4032
	v_add_u32_e32 v17, s0, v17
	s_movk_i32 s0, 0x4000
	v_add_co_u32_e32 v14, vcc, s0, v14
	global_load_dwordx4 v[16:19], v[16:17], off
	s_nop 0
	v_addc_co_u32_e32 v15, vcc, 0, v15, vcc
	global_load_dwordx4 v[112:115], v[14:15], off offset:1024
	v_add_u32_e32 v23, v12, v66
	s_mov_b32 s26, 0x5d8e7cdc
	s_mov_b32 s42, 0x2a9d6da3
	;; [unrolled: 1-line block ×3, first 2 shown]
	s_waitcnt vmcnt(32)
	v_mul_f64 v[12:13], v[68:69], v[40:41]
	v_fma_f64 v[90:91], v[70:71], v[38:39], -v[12:13]
	v_mul_f64 v[88:89], v[70:71], v[40:41]
	v_fmac_f64_e32 v[88:89], v[68:69], v[38:39]
	ds_write_b128 v23, v[88:91]
	s_mov_b32 s34, 0xeb564b22
	s_mov_b32 s18, 0x923c349f
	;; [unrolled: 1-line block ×3, first 2 shown]
	s_waitcnt vmcnt(22)
	v_mul_f64 v[12:13], v[26:27], v[150:151]
	v_mul_f64 v[14:15], v[24:25], v[150:151]
	v_fmac_f64_e32 v[12:13], v[24:25], v[148:149]
	v_fma_f64 v[14:15], v[26:27], v[148:149], -v[14:15]
	ds_write_b128 v23, v[12:15] offset:1088
	s_waitcnt vmcnt(21)
	v_mul_f64 v[12:13], v[30:31], v[146:147]
	v_mul_f64 v[14:15], v[28:29], v[146:147]
	v_fmac_f64_e32 v[12:13], v[28:29], v[144:145]
	v_fma_f64 v[14:15], v[30:31], v[144:145], -v[14:15]
	ds_write_b128 v23, v[12:15] offset:2176
	;; [unrolled: 6-line block ×6, first 2 shown]
	s_waitcnt vmcnt(16)
	v_mul_f64 v[12:13], v[10:11], v[52:53]
	v_fmac_f64_e32 v[12:13], v[8:9], v[50:51]
	v_mul_f64 v[8:9], v[8:9], v[52:53]
	v_fma_f64 v[14:15], v[10:11], v[50:51], -v[8:9]
	s_waitcnt vmcnt(15)
	v_mul_f64 v[8:9], v[6:7], v[44:45]
	v_fmac_f64_e32 v[8:9], v[4:5], v[42:43]
	v_mul_f64 v[4:5], v[4:5], v[44:45]
	v_fma_f64 v[10:11], v[6:7], v[42:43], -v[4:5]
	;; [unrolled: 5-line block ×3, first 2 shown]
	s_waitcnt vmcnt(11)
	v_mul_f64 v[0:1], v[86:87], v[122:123]
	v_mul_f64 v[2:3], v[84:85], v[122:123]
	v_fmac_f64_e32 v[0:1], v[84:85], v[120:121]
	v_fma_f64 v[2:3], v[86:87], v[120:121], -v[2:3]
	ds_write_b128 v23, v[0:3] offset:10880
	s_waitcnt vmcnt(10)
	v_mul_f64 v[0:1], v[94:95], v[56:57]
	v_mul_f64 v[2:3], v[92:93], v[56:57]
	v_fmac_f64_e32 v[0:1], v[92:93], v[54:55]
	v_fma_f64 v[2:3], v[94:95], v[54:55], -v[2:3]
	ds_write_b128 v23, v[0:3] offset:11968
	;; [unrolled: 6-line block ×6, first 2 shown]
	s_waitcnt vmcnt(0)
	v_mul_f64 v[0:1], v[18:19], v[114:115]
	v_mul_f64 v[2:3], v[16:17], v[114:115]
	v_fmac_f64_e32 v[0:1], v[16:17], v[112:113]
	v_accvgpr_write_b32 a28, v112
	v_fma_f64 v[2:3], v[18:19], v[112:113], -v[2:3]
	ds_write_b128 v23, v[12:15] offset:7616
	ds_write_b128 v23, v[8:11] offset:8704
	;; [unrolled: 1-line block ×3, first 2 shown]
	v_accvgpr_write_b32 a29, v113
	v_accvgpr_write_b32 a30, v114
	;; [unrolled: 1-line block ×3, first 2 shown]
	ds_write_b128 v23, v[0:3] offset:17408
	s_waitcnt lgkmcnt(0)
	s_barrier
	ds_read_b128 v[0:3], v23
	ds_read_b128 v[12:15], v23 offset:1088
	ds_read_b128 v[4:7], v23 offset:2176
	ds_read_b128 v[112:115], v23 offset:3264
	ds_read_b128 v[104:107], v23 offset:4352
	ds_read_b128 v[96:99], v23 offset:5440
	ds_read_b128 v[88:91], v23 offset:6528
	ds_read_b128 v[80:83], v23 offset:7616
	ds_read_b128 v[72:75], v23 offset:8704
	ds_read_b128 v[76:79], v23 offset:9792
	ds_read_b128 v[84:87], v23 offset:10880
	ds_read_b128 v[92:95], v23 offset:11968
	ds_read_b128 v[100:103], v23 offset:13056
	ds_read_b128 v[108:111], v23 offset:14144
	ds_read_b128 v[8:11], v23 offset:15232
	ds_read_b128 v[16:19], v23 offset:16320
	ds_read_b128 v[24:27], v23 offset:17408
	s_waitcnt lgkmcnt(14)
	v_add_f64 v[30:31], v[2:3], v[14:15]
	v_add_f64 v[28:29], v[0:1], v[12:13]
	;; [unrolled: 1-line block ×4, first 2 shown]
	s_waitcnt lgkmcnt(13)
	v_add_f64 v[30:31], v[30:31], v[114:115]
	v_add_f64 v[28:29], v[28:29], v[112:113]
	s_waitcnt lgkmcnt(12)
	v_add_f64 v[30:31], v[30:31], v[106:107]
	v_add_f64 v[28:29], v[28:29], v[104:105]
	;; [unrolled: 3-line block ×12, first 2 shown]
	s_waitcnt lgkmcnt(1)
	v_add_f64 v[30:31], v[30:31], v[18:19]
	s_mov_b32 s30, 0x4363dd80
	s_mov_b32 s38, 0xacd6c6b4
	v_accvgpr_write_b32 a48, v132
	v_accvgpr_write_b32 a32, v116
	;; [unrolled: 1-line block ×5, first 2 shown]
	v_add_f64 v[28:29], v[28:29], v[16:17]
	s_waitcnt lgkmcnt(0)
	v_add_f64 v[70:71], v[30:31], v[26:27]
	v_add_f64 v[30:31], v[14:15], v[26:27]
	v_add_f64 v[14:15], v[14:15], -v[26:27]
	s_mov_b32 s27, 0xbfd71e95
	s_mov_b32 s20, 0x370991
	;; [unrolled: 1-line block ×16, first 2 shown]
	v_accvgpr_write_b32 a0, v38
	v_accvgpr_write_b32 a56, v140
	;; [unrolled: 1-line block ×22, first 2 shown]
	v_add_f64 v[68:69], v[28:29], v[24:25]
	v_add_f64 v[28:29], v[12:13], v[24:25]
	v_add_f64 v[12:13], v[12:13], -v[24:25]
	v_mul_f64 v[24:25], v[14:15], s[26:27]
	s_mov_b32 s21, 0x3fedd6d0
	v_mul_f64 v[36:37], v[14:15], s[42:43]
	s_mov_b32 s13, 0x3fe7a5f6
	;; [unrolled: 2-line block ×8, first 2 shown]
	v_accvgpr_write_b32 a1, v39
	v_accvgpr_write_b32 a2, v40
	;; [unrolled: 1-line block ×22, first 2 shown]
	v_fma_f64 v[26:27], v[28:29], s[20:21], -v[24:25]
	v_mul_f64 v[32:33], v[12:13], s[26:27]
	v_fmac_f64_e32 v[24:25], s[20:21], v[28:29]
	v_fma_f64 v[38:39], v[28:29], s[12:13], -v[36:37]
	v_mul_f64 v[40:41], v[12:13], s[42:43]
	v_fmac_f64_e32 v[36:37], s[12:13], v[28:29]
	;; [unrolled: 3-line block ×8, first 2 shown]
	v_accvgpr_write_b32 a21, v59
	v_accvgpr_write_b32 a22, v60
	;; [unrolled: 1-line block ×3, first 2 shown]
	v_add_f64 v[26:27], v[0:1], v[26:27]
	v_fma_f64 v[34:35], s[20:21], v[30:31], v[32:33]
	v_add_f64 v[24:25], v[0:1], v[24:25]
	v_fma_f64 v[32:33], v[30:31], s[20:21], -v[32:33]
	v_add_f64 v[38:39], v[0:1], v[38:39]
	v_fma_f64 v[42:43], s[12:13], v[30:31], v[40:41]
	v_add_f64 v[36:37], v[0:1], v[36:37]
	v_fma_f64 v[40:41], v[30:31], s[12:13], -v[40:41]
	;; [unrolled: 4-line block ×8, first 2 shown]
	v_add_f64 v[14:15], v[6:7], v[18:19]
	v_add_f64 v[6:7], v[6:7], -v[18:19]
	v_add_f64 v[34:35], v[2:3], v[34:35]
	v_add_f64 v[32:33], v[2:3], v[32:33]
	;; [unrolled: 1-line block ×17, first 2 shown]
	v_add_f64 v[4:5], v[4:5], -v[16:17]
	v_mul_f64 v[16:17], v[6:7], s[42:43]
	v_fma_f64 v[18:19], v[12:13], s[12:13], -v[16:17]
	v_add_f64 v[18:19], v[18:19], v[26:27]
	v_mul_f64 v[26:27], v[4:5], s[42:43]
	v_fmac_f64_e32 v[16:17], s[12:13], v[12:13]
	v_fma_f64 v[28:29], s[12:13], v[14:15], v[26:27]
	v_add_f64 v[16:17], v[16:17], v[24:25]
	v_fma_f64 v[24:25], v[14:15], s[12:13], -v[26:27]
	v_mul_f64 v[26:27], v[6:7], s[34:35]
	v_fma_f64 v[30:31], v[12:13], s[0:1], -v[26:27]
	v_fmac_f64_e32 v[26:27], s[0:1], v[12:13]
	v_add_f64 v[24:25], v[24:25], v[32:33]
	v_mul_f64 v[32:33], v[4:5], s[34:35]
	v_add_f64 v[26:27], v[26:27], v[36:37]
	v_mul_f64 v[36:37], v[6:7], s[24:25]
	v_add_f64 v[28:29], v[28:29], v[34:35]
	v_add_f64 v[30:31], v[30:31], v[38:39]
	v_fma_f64 v[34:35], s[0:1], v[14:15], v[32:33]
	v_fma_f64 v[32:33], v[14:15], s[0:1], -v[32:33]
	v_fma_f64 v[38:39], v[12:13], s[22:23], -v[36:37]
	v_fmac_f64_e32 v[36:37], s[22:23], v[12:13]
	v_add_f64 v[32:33], v[32:33], v[40:41]
	v_mul_f64 v[40:41], v[4:5], s[24:25]
	v_add_f64 v[36:37], v[36:37], v[44:45]
	v_mul_f64 v[44:45], v[6:7], s[38:39]
	v_add_f64 v[34:35], v[34:35], v[42:43]
	v_add_f64 v[38:39], v[38:39], v[46:47]
	v_fma_f64 v[42:43], s[22:23], v[14:15], v[40:41]
	v_fma_f64 v[40:41], v[14:15], s[22:23], -v[40:41]
	v_fma_f64 v[46:47], v[12:13], s[36:37], -v[44:45]
	v_fmac_f64_e32 v[44:45], s[36:37], v[12:13]
	s_mov_b32 s53, 0x3fe0d888
	s_mov_b32 s52, s30
	v_add_f64 v[40:41], v[40:41], v[48:49]
	v_mul_f64 v[48:49], v[4:5], s[38:39]
	v_add_f64 v[44:45], v[44:45], v[52:53]
	v_mul_f64 v[52:53], v[6:7], s[52:53]
	v_add_f64 v[42:43], v[42:43], v[50:51]
	v_add_f64 v[46:47], v[46:47], v[54:55]
	v_fma_f64 v[50:51], s[36:37], v[14:15], v[48:49]
	v_fma_f64 v[48:49], v[14:15], s[36:37], -v[48:49]
	v_fma_f64 v[54:55], v[12:13], s[28:29], -v[52:53]
	v_fmac_f64_e32 v[52:53], s[28:29], v[12:13]
	s_mov_b32 s51, 0x3feec746
	s_mov_b32 s50, s18
	;; [unrolled: 12-line block ×3, first 2 shown]
	v_add_f64 v[56:57], v[56:57], v[120:121]
	v_mul_f64 v[120:121], v[4:5], s[50:51]
	v_add_f64 v[116:117], v[116:117], v[124:125]
	v_mul_f64 v[124:125], v[6:7], s[40:41]
	s_mov_b32 s45, 0x3fd71e95
	s_mov_b32 s44, s26
	v_add_f64 v[58:59], v[58:59], v[122:123]
	v_add_f64 v[118:119], v[118:119], v[126:127]
	v_fma_f64 v[122:123], s[16:17], v[14:15], v[120:121]
	v_fma_f64 v[120:121], v[14:15], s[16:17], -v[120:121]
	v_fma_f64 v[126:127], v[12:13], s[2:3], -v[124:125]
	v_fmac_f64_e32 v[124:125], s[2:3], v[12:13]
	v_mul_f64 v[6:7], v[6:7], s[44:45]
	v_add_f64 v[120:121], v[120:121], v[128:129]
	v_mul_f64 v[128:129], v[4:5], s[40:41]
	v_add_f64 v[124:125], v[124:125], v[132:133]
	v_fma_f64 v[132:133], v[12:13], s[20:21], -v[6:7]
	v_mul_f64 v[4:5], v[4:5], s[44:45]
	v_fmac_f64_e32 v[6:7], s[20:21], v[12:13]
	v_add_f64 v[126:127], v[126:127], v[134:135]
	v_fma_f64 v[134:135], s[20:21], v[14:15], v[4:5]
	v_add_f64 v[0:1], v[6:7], v[0:1]
	v_fma_f64 v[4:5], v[14:15], s[20:21], -v[4:5]
	v_add_f64 v[6:7], v[114:115], v[10:11]
	v_add_f64 v[10:11], v[114:115], -v[10:11]
	v_add_f64 v[2:3], v[4:5], v[2:3]
	v_add_f64 v[4:5], v[112:113], v[8:9]
	v_mul_f64 v[12:13], v[10:11], s[48:49]
	v_add_f64 v[122:123], v[122:123], v[130:131]
	v_fma_f64 v[130:131], s[2:3], v[14:15], v[128:129]
	v_fma_f64 v[128:129], v[14:15], s[2:3], -v[128:129]
	v_add_f64 v[8:9], v[112:113], -v[8:9]
	v_fma_f64 v[14:15], v[4:5], s[2:3], -v[12:13]
	v_add_f64 v[14:15], v[14:15], v[18:19]
	v_mul_f64 v[18:19], v[8:9], s[48:49]
	v_fmac_f64_e32 v[12:13], s[2:3], v[4:5]
	v_fma_f64 v[112:113], s[2:3], v[6:7], v[18:19]
	v_add_f64 v[12:13], v[12:13], v[16:17]
	v_fma_f64 v[16:17], v[6:7], s[2:3], -v[18:19]
	v_mul_f64 v[18:19], v[10:11], s[24:25]
	v_add_f64 v[16:17], v[16:17], v[24:25]
	v_fma_f64 v[24:25], v[4:5], s[22:23], -v[18:19]
	v_add_f64 v[24:25], v[24:25], v[30:31]
	v_mul_f64 v[30:31], v[8:9], s[24:25]
	v_fmac_f64_e32 v[18:19], s[22:23], v[4:5]
	s_mov_b32 s47, 0x3fc7851a
	s_mov_b32 s46, s38
	v_add_f64 v[28:29], v[112:113], v[28:29]
	v_fma_f64 v[112:113], s[22:23], v[6:7], v[30:31]
	v_add_f64 v[18:19], v[18:19], v[26:27]
	v_fma_f64 v[26:27], v[6:7], s[22:23], -v[30:31]
	v_mul_f64 v[30:31], v[10:11], s[46:47]
	v_add_f64 v[26:27], v[26:27], v[32:33]
	v_fma_f64 v[32:33], v[4:5], s[36:37], -v[30:31]
	v_add_f64 v[32:33], v[32:33], v[38:39]
	v_mul_f64 v[38:39], v[8:9], s[46:47]
	v_fmac_f64_e32 v[30:31], s[36:37], v[4:5]
	v_add_f64 v[34:35], v[112:113], v[34:35]
	v_fma_f64 v[112:113], s[36:37], v[6:7], v[38:39]
	v_add_f64 v[30:31], v[30:31], v[36:37]
	v_fma_f64 v[36:37], v[6:7], s[36:37], -v[38:39]
	v_mul_f64 v[38:39], v[10:11], s[50:51]
	v_add_f64 v[36:37], v[36:37], v[40:41]
	v_fma_f64 v[40:41], v[4:5], s[16:17], -v[38:39]
	v_add_f64 v[40:41], v[40:41], v[46:47]
	v_mul_f64 v[46:47], v[8:9], s[50:51]
	v_fmac_f64_e32 v[38:39], s[16:17], v[4:5]
	s_mov_b32 s47, 0x3fe58eea
	s_mov_b32 s46, s42
	v_add_f64 v[42:43], v[112:113], v[42:43]
	v_fma_f64 v[112:113], s[16:17], v[6:7], v[46:47]
	v_add_f64 v[38:39], v[38:39], v[44:45]
	v_fma_f64 v[44:45], v[6:7], s[16:17], -v[46:47]
	v_mul_f64 v[46:47], v[10:11], s[46:47]
	v_add_f64 v[44:45], v[44:45], v[48:49]
	v_fma_f64 v[48:49], v[4:5], s[12:13], -v[46:47]
	v_add_f64 v[48:49], v[48:49], v[54:55]
	v_mul_f64 v[54:55], v[8:9], s[46:47]
	v_fmac_f64_e32 v[46:47], s[12:13], v[4:5]
	v_add_f64 v[50:51], v[112:113], v[50:51]
	v_fma_f64 v[112:113], s[12:13], v[6:7], v[54:55]
	v_add_f64 v[46:47], v[46:47], v[52:53]
	v_fma_f64 v[52:53], v[6:7], s[12:13], -v[54:55]
	v_mul_f64 v[54:55], v[10:11], s[26:27]
	v_add_f64 v[52:53], v[52:53], v[56:57]
	v_fma_f64 v[56:57], v[4:5], s[20:21], -v[54:55]
	v_fmac_f64_e32 v[54:55], s[20:21], v[4:5]
	v_add_f64 v[58:59], v[112:113], v[58:59]
	v_mul_f64 v[112:113], v[8:9], s[26:27]
	v_add_f64 v[54:55], v[54:55], v[116:117]
	v_mul_f64 v[116:117], v[10:11], s[34:35]
	v_add_f64 v[56:57], v[56:57], v[118:119]
	v_fma_f64 v[114:115], s[20:21], v[6:7], v[112:113]
	v_fma_f64 v[112:113], v[6:7], s[20:21], -v[112:113]
	v_fma_f64 v[118:119], v[4:5], s[0:1], -v[116:117]
	v_fmac_f64_e32 v[116:117], s[0:1], v[4:5]
	v_mul_f64 v[10:11], v[10:11], s[30:31]
	v_add_f64 v[112:113], v[112:113], v[120:121]
	v_mul_f64 v[120:121], v[8:9], s[34:35]
	v_add_f64 v[116:117], v[116:117], v[124:125]
	v_fma_f64 v[124:125], v[4:5], s[28:29], -v[10:11]
	v_mul_f64 v[8:9], v[8:9], s[30:31]
	v_fmac_f64_e32 v[10:11], s[28:29], v[4:5]
	v_add_f64 v[0:1], v[10:11], v[0:1]
	v_fma_f64 v[4:5], v[6:7], s[28:29], -v[8:9]
	v_add_f64 v[10:11], v[106:107], -v[110:111]
	v_add_f64 v[118:119], v[118:119], v[126:127]
	v_fma_f64 v[126:127], s[28:29], v[6:7], v[8:9]
	v_add_f64 v[2:3], v[4:5], v[2:3]
	v_add_f64 v[4:5], v[104:105], v[108:109]
	v_add_f64 v[8:9], v[104:105], -v[108:109]
	v_mul_f64 v[104:105], v[10:11], s[34:35]
	v_add_f64 v[114:115], v[114:115], v[122:123]
	v_fma_f64 v[122:123], s[0:1], v[6:7], v[120:121]
	v_fma_f64 v[120:121], v[6:7], s[0:1], -v[120:121]
	v_add_f64 v[6:7], v[106:107], v[110:111]
	v_fma_f64 v[106:107], v[4:5], s[0:1], -v[104:105]
	v_add_f64 v[14:15], v[106:107], v[14:15]
	v_mul_f64 v[106:107], v[8:9], s[34:35]
	v_fmac_f64_e32 v[104:105], s[0:1], v[4:5]
	v_add_f64 v[12:13], v[104:105], v[12:13]
	v_fma_f64 v[104:105], v[6:7], s[0:1], -v[106:107]
	v_add_f64 v[16:17], v[104:105], v[16:17]
	v_mul_f64 v[104:105], v[10:11], s[38:39]
	v_fma_f64 v[108:109], s[0:1], v[6:7], v[106:107]
	v_fma_f64 v[106:107], v[4:5], s[36:37], -v[104:105]
	v_add_f64 v[24:25], v[106:107], v[24:25]
	v_mul_f64 v[106:107], v[8:9], s[38:39]
	v_fmac_f64_e32 v[104:105], s[36:37], v[4:5]
	v_add_f64 v[18:19], v[104:105], v[18:19]
	v_fma_f64 v[104:105], v[6:7], s[36:37], -v[106:107]
	v_add_f64 v[26:27], v[104:105], v[26:27]
	v_mul_f64 v[104:105], v[10:11], s[50:51]
	v_add_f64 v[28:29], v[108:109], v[28:29]
	v_fma_f64 v[108:109], s[36:37], v[6:7], v[106:107]
	v_fma_f64 v[106:107], v[4:5], s[16:17], -v[104:105]
	v_add_f64 v[32:33], v[106:107], v[32:33]
	v_mul_f64 v[106:107], v[8:9], s[50:51]
	v_fmac_f64_e32 v[104:105], s[16:17], v[4:5]
	v_add_f64 v[30:31], v[104:105], v[30:31]
	v_fma_f64 v[104:105], v[6:7], s[16:17], -v[106:107]
	v_add_f64 v[36:37], v[104:105], v[36:37]
	v_mul_f64 v[104:105], v[10:11], s[44:45]
	v_add_f64 v[34:35], v[108:109], v[34:35]
	;; [unrolled: 10-line block ×4, first 2 shown]
	v_fma_f64 v[108:109], s[2:3], v[6:7], v[106:107]
	v_fma_f64 v[106:107], v[4:5], s[28:29], -v[104:105]
	v_add_f64 v[56:57], v[106:107], v[56:57]
	v_mul_f64 v[106:107], v[8:9], s[30:31]
	v_fmac_f64_e32 v[104:105], s[28:29], v[4:5]
	s_mov_b32 s55, 0x3fe9895b
	s_mov_b32 s54, s24
	v_add_f64 v[58:59], v[108:109], v[58:59]
	v_fma_f64 v[108:109], s[28:29], v[6:7], v[106:107]
	v_add_f64 v[54:55], v[104:105], v[54:55]
	v_fma_f64 v[104:105], v[6:7], s[28:29], -v[106:107]
	v_mul_f64 v[106:107], v[10:11], s[54:55]
	v_fma_f64 v[110:111], v[4:5], s[22:23], -v[106:107]
	v_fmac_f64_e32 v[106:107], s[22:23], v[4:5]
	v_mul_f64 v[10:11], v[10:11], s[46:47]
	v_add_f64 v[104:105], v[104:105], v[112:113]
	v_mul_f64 v[112:113], v[8:9], s[54:55]
	v_add_f64 v[106:107], v[106:107], v[116:117]
	v_fma_f64 v[116:117], v[4:5], s[12:13], -v[10:11]
	v_mul_f64 v[8:9], v[8:9], s[46:47]
	v_fmac_f64_e32 v[10:11], s[12:13], v[4:5]
	v_add_f64 v[0:1], v[10:11], v[0:1]
	v_fma_f64 v[4:5], v[6:7], s[12:13], -v[8:9]
	v_add_f64 v[10:11], v[98:99], -v[102:103]
	v_add_f64 v[110:111], v[110:111], v[118:119]
	v_fma_f64 v[118:119], s[12:13], v[6:7], v[8:9]
	v_add_f64 v[2:3], v[4:5], v[2:3]
	v_add_f64 v[4:5], v[96:97], v[100:101]
	v_add_f64 v[8:9], v[96:97], -v[100:101]
	v_mul_f64 v[96:97], v[10:11], s[18:19]
	v_add_f64 v[108:109], v[108:109], v[114:115]
	v_fma_f64 v[114:115], s[22:23], v[6:7], v[112:113]
	v_fma_f64 v[112:113], v[6:7], s[22:23], -v[112:113]
	v_add_f64 v[6:7], v[98:99], v[102:103]
	v_fma_f64 v[98:99], v[4:5], s[16:17], -v[96:97]
	v_add_f64 v[14:15], v[98:99], v[14:15]
	v_mul_f64 v[98:99], v[8:9], s[18:19]
	v_fmac_f64_e32 v[96:97], s[16:17], v[4:5]
	v_add_f64 v[12:13], v[96:97], v[12:13]
	v_fma_f64 v[96:97], v[6:7], s[16:17], -v[98:99]
	v_add_f64 v[16:17], v[96:97], v[16:17]
	v_mul_f64 v[96:97], v[10:11], s[52:53]
	v_fma_f64 v[100:101], s[16:17], v[6:7], v[98:99]
	v_fma_f64 v[98:99], v[4:5], s[28:29], -v[96:97]
	v_add_f64 v[24:25], v[98:99], v[24:25]
	v_mul_f64 v[98:99], v[8:9], s[52:53]
	v_fmac_f64_e32 v[96:97], s[28:29], v[4:5]
	v_add_f64 v[18:19], v[96:97], v[18:19]
	v_fma_f64 v[96:97], v[6:7], s[28:29], -v[98:99]
	v_add_f64 v[26:27], v[96:97], v[26:27]
	v_mul_f64 v[96:97], v[10:11], s[46:47]
	v_add_f64 v[28:29], v[100:101], v[28:29]
	v_fma_f64 v[100:101], s[28:29], v[6:7], v[98:99]
	v_fma_f64 v[98:99], v[4:5], s[12:13], -v[96:97]
	v_add_f64 v[32:33], v[98:99], v[32:33]
	v_mul_f64 v[98:99], v[8:9], s[46:47]
	v_fmac_f64_e32 v[96:97], s[12:13], v[4:5]
	v_add_f64 v[30:31], v[96:97], v[30:31]
	v_fma_f64 v[96:97], v[6:7], s[12:13], -v[98:99]
	v_add_f64 v[36:37], v[96:97], v[36:37]
	v_mul_f64 v[96:97], v[10:11], s[48:49]
	v_add_f64 v[34:35], v[100:101], v[34:35]
	;; [unrolled: 10-line block ×3, first 2 shown]
	v_fma_f64 v[100:101], s[2:3], v[6:7], v[98:99]
	v_fma_f64 v[98:99], v[4:5], s[36:37], -v[96:97]
	v_add_f64 v[48:49], v[98:99], v[48:49]
	v_mul_f64 v[98:99], v[8:9], s[38:39]
	v_fmac_f64_e32 v[96:97], s[36:37], v[4:5]
	v_add_f64 v[46:47], v[96:97], v[46:47]
	v_fma_f64 v[96:97], v[6:7], s[36:37], -v[98:99]
	s_mov_b32 s49, 0x3fefdd0d
	s_mov_b32 s48, s34
	v_add_f64 v[52:53], v[96:97], v[52:53]
	v_mul_f64 v[96:97], v[10:11], s[48:49]
	v_add_f64 v[50:51], v[100:101], v[50:51]
	v_fma_f64 v[100:101], s[36:37], v[6:7], v[98:99]
	v_fma_f64 v[98:99], v[4:5], s[0:1], -v[96:97]
	v_add_f64 v[56:57], v[98:99], v[56:57]
	v_mul_f64 v[98:99], v[8:9], s[48:49]
	v_fmac_f64_e32 v[96:97], s[0:1], v[4:5]
	v_add_f64 v[58:59], v[100:101], v[58:59]
	v_fma_f64 v[100:101], s[0:1], v[6:7], v[98:99]
	v_add_f64 v[54:55], v[96:97], v[54:55]
	v_fma_f64 v[96:97], v[6:7], s[0:1], -v[98:99]
	v_mul_f64 v[98:99], v[10:11], s[26:27]
	v_fma_f64 v[102:103], v[4:5], s[20:21], -v[98:99]
	v_fmac_f64_e32 v[98:99], s[20:21], v[4:5]
	v_mul_f64 v[10:11], v[10:11], s[24:25]
	v_add_f64 v[96:97], v[96:97], v[104:105]
	v_mul_f64 v[104:105], v[8:9], s[26:27]
	v_add_f64 v[98:99], v[98:99], v[106:107]
	v_fma_f64 v[106:107], v[4:5], s[22:23], -v[10:11]
	v_mul_f64 v[8:9], v[8:9], s[24:25]
	v_fmac_f64_e32 v[10:11], s[22:23], v[4:5]
	v_add_f64 v[0:1], v[10:11], v[0:1]
	v_fma_f64 v[4:5], v[6:7], s[22:23], -v[8:9]
	v_add_f64 v[10:11], v[90:91], -v[94:95]
	v_add_f64 v[102:103], v[102:103], v[110:111]
	v_fma_f64 v[110:111], s[22:23], v[6:7], v[8:9]
	v_add_f64 v[2:3], v[4:5], v[2:3]
	v_add_f64 v[4:5], v[88:89], v[92:93]
	v_add_f64 v[8:9], v[88:89], -v[92:93]
	v_mul_f64 v[88:89], v[10:11], s[24:25]
	v_add_f64 v[100:101], v[100:101], v[108:109]
	v_fma_f64 v[108:109], s[20:21], v[6:7], v[104:105]
	v_fma_f64 v[104:105], v[6:7], s[20:21], -v[104:105]
	v_add_f64 v[6:7], v[90:91], v[94:95]
	v_fma_f64 v[90:91], v[4:5], s[22:23], -v[88:89]
	v_add_f64 v[14:15], v[90:91], v[14:15]
	v_mul_f64 v[90:91], v[8:9], s[24:25]
	v_fmac_f64_e32 v[88:89], s[22:23], v[4:5]
	v_add_f64 v[12:13], v[88:89], v[12:13]
	v_fma_f64 v[88:89], v[6:7], s[22:23], -v[90:91]
	v_add_f64 v[16:17], v[88:89], v[16:17]
	v_mul_f64 v[88:89], v[10:11], s[50:51]
	v_fma_f64 v[92:93], s[22:23], v[6:7], v[90:91]
	v_fma_f64 v[90:91], v[4:5], s[16:17], -v[88:89]
	v_add_f64 v[24:25], v[90:91], v[24:25]
	v_mul_f64 v[90:91], v[8:9], s[50:51]
	v_fmac_f64_e32 v[88:89], s[16:17], v[4:5]
	v_add_f64 v[18:19], v[88:89], v[18:19]
	v_fma_f64 v[88:89], v[6:7], s[16:17], -v[90:91]
	v_add_f64 v[26:27], v[88:89], v[26:27]
	v_mul_f64 v[88:89], v[10:11], s[26:27]
	v_add_f64 v[28:29], v[92:93], v[28:29]
	v_fma_f64 v[92:93], s[16:17], v[6:7], v[90:91]
	v_fma_f64 v[90:91], v[4:5], s[20:21], -v[88:89]
	v_add_f64 v[32:33], v[90:91], v[32:33]
	v_mul_f64 v[90:91], v[8:9], s[26:27]
	v_fmac_f64_e32 v[88:89], s[20:21], v[4:5]
	v_add_f64 v[30:31], v[88:89], v[30:31]
	v_fma_f64 v[88:89], v[6:7], s[20:21], -v[90:91]
	v_add_f64 v[36:37], v[88:89], v[36:37]
	v_mul_f64 v[88:89], v[10:11], s[30:31]
	v_add_f64 v[34:35], v[92:93], v[34:35]
	;; [unrolled: 10-line block ×4, first 2 shown]
	v_fma_f64 v[92:93], s[0:1], v[6:7], v[90:91]
	v_fma_f64 v[90:91], v[4:5], s[12:13], -v[88:89]
	v_add_f64 v[56:57], v[90:91], v[56:57]
	v_mul_f64 v[90:91], v[8:9], s[42:43]
	v_fmac_f64_e32 v[88:89], s[12:13], v[4:5]
	v_add_f64 v[58:59], v[92:93], v[58:59]
	v_fma_f64 v[92:93], s[12:13], v[6:7], v[90:91]
	v_add_f64 v[54:55], v[88:89], v[54:55]
	v_fma_f64 v[88:89], v[6:7], s[12:13], -v[90:91]
	v_mul_f64 v[90:91], v[10:11], s[38:39]
	v_fma_f64 v[94:95], v[4:5], s[36:37], -v[90:91]
	v_fmac_f64_e32 v[90:91], s[36:37], v[4:5]
	v_mul_f64 v[10:11], v[10:11], s[40:41]
	v_add_f64 v[88:89], v[88:89], v[96:97]
	v_mul_f64 v[96:97], v[8:9], s[38:39]
	v_add_f64 v[90:91], v[90:91], v[98:99]
	v_fma_f64 v[98:99], v[4:5], s[2:3], -v[10:11]
	v_mul_f64 v[8:9], v[8:9], s[40:41]
	v_fmac_f64_e32 v[10:11], s[2:3], v[4:5]
	v_add_f64 v[0:1], v[10:11], v[0:1]
	v_fma_f64 v[4:5], v[6:7], s[2:3], -v[8:9]
	v_add_f64 v[10:11], v[82:83], -v[86:87]
	v_add_f64 v[94:95], v[94:95], v[102:103]
	v_fma_f64 v[102:103], s[2:3], v[6:7], v[8:9]
	v_add_f64 v[2:3], v[4:5], v[2:3]
	v_add_f64 v[4:5], v[80:81], v[84:85]
	v_add_f64 v[8:9], v[80:81], -v[84:85]
	v_mul_f64 v[80:81], v[10:11], s[30:31]
	v_add_f64 v[92:93], v[92:93], v[100:101]
	v_fma_f64 v[100:101], s[36:37], v[6:7], v[96:97]
	v_fma_f64 v[96:97], v[6:7], s[36:37], -v[96:97]
	v_add_f64 v[6:7], v[82:83], v[86:87]
	v_fma_f64 v[82:83], v[4:5], s[28:29], -v[80:81]
	v_add_f64 v[14:15], v[82:83], v[14:15]
	v_mul_f64 v[82:83], v[8:9], s[30:31]
	v_fmac_f64_e32 v[80:81], s[28:29], v[4:5]
	v_add_f64 v[12:13], v[80:81], v[12:13]
	v_fma_f64 v[80:81], v[6:7], s[28:29], -v[82:83]
	v_add_f64 v[16:17], v[80:81], v[16:17]
	v_mul_f64 v[80:81], v[10:11], s[40:41]
	v_fma_f64 v[84:85], s[28:29], v[6:7], v[82:83]
	v_fma_f64 v[82:83], v[4:5], s[2:3], -v[80:81]
	v_add_f64 v[24:25], v[82:83], v[24:25]
	v_mul_f64 v[82:83], v[8:9], s[40:41]
	v_fmac_f64_e32 v[80:81], s[2:3], v[4:5]
	v_add_f64 v[18:19], v[80:81], v[18:19]
	v_fma_f64 v[80:81], v[6:7], s[2:3], -v[82:83]
	v_add_f64 v[26:27], v[80:81], v[26:27]
	v_mul_f64 v[80:81], v[10:11], s[34:35]
	v_add_f64 v[28:29], v[84:85], v[28:29]
	v_fma_f64 v[84:85], s[2:3], v[6:7], v[82:83]
	v_fma_f64 v[82:83], v[4:5], s[0:1], -v[80:81]
	v_add_f64 v[32:33], v[82:83], v[32:33]
	v_mul_f64 v[82:83], v[8:9], s[34:35]
	v_fmac_f64_e32 v[80:81], s[0:1], v[4:5]
	v_add_f64 v[30:31], v[80:81], v[30:31]
	v_fma_f64 v[80:81], v[6:7], s[0:1], -v[82:83]
	v_add_f64 v[36:37], v[80:81], v[36:37]
	v_mul_f64 v[80:81], v[10:11], s[54:55]
	v_add_f64 v[34:35], v[84:85], v[34:35]
	;; [unrolled: 10-line block ×4, first 2 shown]
	v_fma_f64 v[84:85], s[20:21], v[6:7], v[82:83]
	v_fma_f64 v[82:83], v[4:5], s[36:37], -v[80:81]
	v_add_f64 v[56:57], v[82:83], v[56:57]
	v_mul_f64 v[82:83], v[8:9], s[38:39]
	v_fmac_f64_e32 v[80:81], s[36:37], v[4:5]
	v_add_f64 v[128:129], v[128:129], v[136:137]
	v_add_f64 v[54:55], v[80:81], v[54:55]
	v_fma_f64 v[80:81], v[6:7], s[36:37], -v[82:83]
	v_add_f64 v[132:133], v[132:133], v[140:141]
	v_add_f64 v[120:121], v[120:121], v[128:129]
	;; [unrolled: 1-line block ×3, first 2 shown]
	v_mul_f64 v[80:81], v[10:11], s[46:47]
	v_add_f64 v[130:131], v[130:131], v[138:139]
	v_add_f64 v[134:135], v[134:135], v[142:143]
	v_add_f64 v[124:125], v[124:125], v[132:133]
	v_add_f64 v[112:113], v[112:113], v[120:121]
	v_add_f64 v[58:59], v[84:85], v[58:59]
	v_fma_f64 v[84:85], s[36:37], v[6:7], v[82:83]
	v_fma_f64 v[82:83], v[4:5], s[12:13], -v[80:81]
	v_add_f64 v[122:123], v[122:123], v[130:131]
	v_add_f64 v[126:127], v[126:127], v[134:135]
	v_add_f64 v[116:117], v[116:117], v[124:125]
	v_add_f64 v[104:105], v[104:105], v[112:113]
	v_add_f64 v[88:89], v[82:83], v[94:95]
	v_mul_f64 v[82:83], v[8:9], s[46:47]
	v_fmac_f64_e32 v[80:81], s[12:13], v[4:5]
	v_add_f64 v[114:115], v[114:115], v[122:123]
	v_add_f64 v[118:119], v[118:119], v[126:127]
	;; [unrolled: 1-line block ×5, first 2 shown]
	v_fma_f64 v[80:81], v[6:7], s[12:13], -v[82:83]
	v_mul_f64 v[10:11], v[10:11], s[18:19]
	v_add_f64 v[108:109], v[108:109], v[114:115]
	v_add_f64 v[110:111], v[110:111], v[118:119]
	;; [unrolled: 1-line block ×4, first 2 shown]
	v_fma_f64 v[80:81], v[4:5], s[16:17], -v[10:11]
	v_mul_f64 v[8:9], v[8:9], s[18:19]
	v_add_f64 v[100:101], v[100:101], v[108:109]
	v_add_f64 v[102:103], v[102:103], v[110:111]
	;; [unrolled: 1-line block ×3, first 2 shown]
	v_fma_f64 v[92:93], s[12:13], v[6:7], v[82:83]
	v_add_f64 v[98:99], v[80:81], v[98:99]
	v_fma_f64 v[80:81], s[16:17], v[6:7], v[8:9]
	v_fmac_f64_e32 v[10:11], s[16:17], v[4:5]
	v_add_f64 v[116:117], v[74:75], -v[78:79]
	v_add_f64 v[92:93], v[92:93], v[100:101]
	v_add_f64 v[100:101], v[80:81], v[102:103]
	;; [unrolled: 1-line block ×3, first 2 shown]
	v_fma_f64 v[0:1], v[6:7], s[16:17], -v[8:9]
	v_add_f64 v[110:111], v[72:73], v[76:77]
	v_add_f64 v[114:115], v[72:73], -v[76:77]
	v_mul_f64 v[4:5], v[116:117], s[38:39]
	v_add_f64 v[108:109], v[0:1], v[2:3]
	v_add_f64 v[112:113], v[74:75], v[78:79]
	v_fma_f64 v[0:1], v[110:111], s[36:37], -v[4:5]
	v_mul_f64 v[6:7], v[114:115], s[38:39]
	v_fmac_f64_e32 v[4:5], s[36:37], v[110:111]
	v_add_f64 v[104:105], v[4:5], v[12:13]
	v_fma_f64 v[4:5], v[112:113], s[36:37], -v[6:7]
	v_add_f64 v[106:107], v[4:5], v[16:17]
	v_mul_f64 v[16:17], v[116:117], s[30:31]
	v_mul_f64 v[10:11], v[114:115], s[44:45]
	v_fma_f64 v[12:13], v[110:111], s[28:29], -v[16:17]
	v_fma_f64 v[2:3], s[36:37], v[112:113], v[6:7]
	v_fma_f64 v[6:7], s[20:21], v[112:113], v[10:11]
	v_add_f64 v[12:13], v[12:13], v[32:33]
	v_mul_f64 v[32:33], v[116:117], s[24:25]
	v_mul_f64 v[8:9], v[116:117], s[44:45]
	v_add_f64 v[6:7], v[6:7], v[34:35]
	v_fma_f64 v[34:35], v[110:111], s[22:23], -v[32:33]
	v_fma_f64 v[4:5], v[110:111], s[20:21], -v[8:9]
	v_fmac_f64_e32 v[8:9], s[20:21], v[110:111]
	v_add_f64 v[72:73], v[34:35], v[48:49]
	v_mul_f64 v[34:35], v[114:115], s[24:25]
	v_fmac_f64_e32 v[32:33], s[22:23], v[110:111]
	v_add_f64 v[8:9], v[8:9], v[18:19]
	v_mul_f64 v[18:19], v[114:115], s[30:31]
	v_add_f64 v[76:77], v[32:33], v[46:47]
	v_fma_f64 v[32:33], v[112:113], s[22:23], -v[34:35]
	v_add_f64 v[0:1], v[0:1], v[14:15]
	v_fma_f64 v[14:15], s[28:29], v[112:113], v[18:19]
	v_fma_f64 v[18:19], v[112:113], s[28:29], -v[18:19]
	v_add_f64 v[78:79], v[32:33], v[52:53]
	v_mul_f64 v[32:33], v[116:117], s[40:41]
	v_add_f64 v[18:19], v[18:19], v[36:37]
	v_fma_f64 v[36:37], s[22:23], v[112:113], v[34:35]
	v_fma_f64 v[34:35], v[110:111], s[2:3], -v[32:33]
	v_add_f64 v[80:81], v[34:35], v[56:57]
	v_mul_f64 v[34:35], v[114:115], s[40:41]
	v_add_f64 v[74:75], v[36:37], v[58:59]
	v_fma_f64 v[36:37], s[2:3], v[112:113], v[34:35]
	v_fmac_f64_e32 v[32:33], s[2:3], v[110:111]
	v_add_f64 v[82:83], v[36:37], v[84:85]
	v_add_f64 v[84:85], v[32:33], v[54:55]
	v_fma_f64 v[32:33], v[112:113], s[2:3], -v[34:35]
	v_add_f64 v[86:87], v[32:33], v[86:87]
	v_mul_f64 v[32:33], v[116:117], s[18:19]
	v_fma_f64 v[34:35], v[110:111], s[16:17], -v[32:33]
	v_add_f64 v[88:89], v[34:35], v[88:89]
	v_mul_f64 v[34:35], v[114:115], s[18:19]
	v_fma_f64 v[36:37], s[16:17], v[112:113], v[34:35]
	v_fmac_f64_e32 v[32:33], s[16:17], v[110:111]
	v_add_f64 v[90:91], v[36:37], v[92:93]
	v_add_f64 v[92:93], v[32:33], v[94:95]
	v_fma_f64 v[32:33], v[112:113], s[16:17], -v[34:35]
	v_add_f64 v[94:95], v[32:33], v[96:97]
	v_mul_f64 v[32:33], v[116:117], s[48:49]
	v_fma_f64 v[34:35], v[110:111], s[0:1], -v[32:33]
	v_add_f64 v[96:97], v[34:35], v[98:99]
	v_mul_f64 v[34:35], v[114:115], s[48:49]
	v_fma_f64 v[36:37], s[0:1], v[112:113], v[34:35]
	v_fmac_f64_e32 v[32:33], s[0:1], v[110:111]
	v_fmac_f64_e32 v[16:17], s[28:29], v[110:111]
	v_add_f64 v[98:99], v[36:37], v[100:101]
	v_add_f64 v[100:101], v[32:33], v[102:103]
	v_fma_f64 v[32:33], v[112:113], s[0:1], -v[34:35]
	v_add_f64 v[2:3], v[2:3], v[28:29]
	v_fma_f64 v[10:11], v[112:113], s[20:21], -v[10:11]
	v_add_f64 v[16:17], v[16:17], v[30:31]
	v_mul_f64 v[28:29], v[116:117], s[46:47]
	v_mul_f64 v[30:31], v[114:115], s[46:47]
	v_add_f64 v[102:103], v[32:33], v[108:109]
	v_mul_lo_u16_e32 v32, 17, v20
	v_accvgpr_write_b32 a60, v144
	v_add_f64 v[4:5], v[4:5], v[24:25]
	v_add_f64 v[10:11], v[10:11], v[26:27]
	v_fma_f64 v[24:25], v[110:111], s[12:13], -v[28:29]
	v_fma_f64 v[26:27], s[12:13], v[112:113], v[30:31]
	v_fmac_f64_e32 v[28:29], s[12:13], v[110:111]
	v_fma_f64 v[30:31], v[112:113], s[12:13], -v[30:31]
	v_lshl_add_u32 v32, v32, 4, v66
	v_accvgpr_write_b32 a61, v145
	v_accvgpr_write_b32 a62, v146
	;; [unrolled: 1-line block ×3, first 2 shown]
	v_add_f64 v[14:15], v[14:15], v[42:43]
	v_add_f64 v[24:25], v[24:25], v[40:41]
	;; [unrolled: 1-line block ×5, first 2 shown]
	s_barrier
	ds_write_b128 v32, v[68:71]
	ds_write_b128 v32, v[0:3] offset:16
	ds_write_b128 v32, v[4:7] offset:32
	;; [unrolled: 1-line block ×16, first 2 shown]
	s_waitcnt lgkmcnt(0)
	s_barrier
	ds_read_b128 v[136:139], v23
	ds_read_b128 v[132:135], v23 offset:1088
	ds_read_b128 v[164:167], v23 offset:9248
	ds_read_b128 v[160:163], v23 offset:10336
	ds_read_b128 v[128:131], v23 offset:2176
	ds_read_b128 v[124:127], v23 offset:3264
	ds_read_b128 v[168:171], v23 offset:11424
	ds_read_b128 v[152:155], v23 offset:12512
	ds_read_b128 v[120:123], v23 offset:4352
	ds_read_b128 v[116:119], v23 offset:5440
	ds_read_b128 v[156:159], v23 offset:13600
	ds_read_b128 v[140:143], v23 offset:14688
	ds_read_b128 v[112:115], v23 offset:6528
	ds_read_b128 v[108:111], v23 offset:7616
	ds_read_b128 v[144:147], v23 offset:15776
	ds_read_b128 v[0:3], v23 offset:16864
	v_accvgpr_write_b32 a64, v148
	v_accvgpr_write_b32 a24, v62
	;; [unrolled: 1-line block ×9, first 2 shown]
	v_cmp_gt_u16_e64 s[0:1], 34, v20
                                        ; implicit-def: $vgpr148_vgpr149
	s_and_saveexec_b64 s[2:3], s[0:1]
	s_cbranch_execz .LBB0_3
; %bb.2:
	ds_read_b128 v[104:107], v23 offset:8704
	ds_read_b128 v[148:151], v23 offset:17952
.LBB0_3:
	s_or_b64 exec, exec, s[2:3]
	s_mov_b64 s[2:3], 0xcc
	v_lshl_add_u64 v[8:9], v[20:21], 0, s[2:3]
	s_mov_b64 s[2:3], 0x110
	v_lshl_add_u64 v[10:11], v[20:21], 0, s[2:3]
	;; [unrolled: 2-line block ×6, first 2 shown]
	s_movk_i32 s2, 0xf1
	v_mul_lo_u16_sdwa v5, v20, s2 dst_sel:DWORD dst_unused:UNUSED_PAD src0_sel:BYTE_0 src1_sel:DWORD
	v_add_u16_e32 v9, 0x44, v20
	v_lshrrev_b16_e32 v33, 12, v5
	v_mul_lo_u16_sdwa v11, v9, s2 dst_sel:DWORD dst_unused:UNUSED_PAD src0_sel:BYTE_0 src1_sel:DWORD
	v_mul_lo_u16_e32 v5, 17, v33
	v_lshrrev_b16_e32 v59, 12, v11
	v_sub_u16_e32 v58, v20, v5
	v_mov_b32_e32 v5, 4
	v_mul_lo_u16_e32 v11, 17, v59
	v_lshlrev_b32_sdwa v7, v5, v58 dst_sel:DWORD dst_unused:UNUSED_PAD src0_sel:DWORD src1_sel:BYTE_0
	v_sub_u16_e32 v60, v9, v11
	v_lshlrev_b32_sdwa v9, v5, v60 dst_sel:DWORD dst_unused:UNUSED_PAD src0_sel:DWORD src1_sel:BYTE_0
	global_load_dwordx4 v[28:31], v7, s[10:11]
	global_load_dwordx4 v[24:27], v9, s[10:11]
	v_add_u16_e32 v7, 0x88, v20
	v_mul_lo_u16_sdwa v9, v7, s2 dst_sel:DWORD dst_unused:UNUSED_PAD src0_sel:BYTE_0 src1_sel:DWORD
	v_lshrrev_b16_e32 v61, 12, v9
	v_mul_lo_u16_e32 v9, 17, v61
	s_mov_b32 s2, 0xf0f1
	v_sub_u16_e32 v62, v7, v9
	v_mul_u32_u24_sdwa v7, v8, s2 dst_sel:DWORD dst_unused:UNUSED_PAD src0_sel:WORD_0 src1_sel:DWORD
	v_lshrrev_b32_e32 v63, 20, v7
	v_mul_lo_u16_e32 v7, 17, v63
	v_lshlrev_b32_sdwa v5, v5, v62 dst_sel:DWORD dst_unused:UNUSED_PAD src0_sel:DWORD src1_sel:BYTE_0
	v_sub_u16_e32 v64, v8, v7
	v_lshlrev_b32_e32 v7, 4, v64
	global_load_dwordx4 v[34:37], v5, s[10:11]
	global_load_dwordx4 v[38:41], v7, s[10:11]
	v_mul_u32_u24_sdwa v5, v10, s2 dst_sel:DWORD dst_unused:UNUSED_PAD src0_sel:WORD_0 src1_sel:DWORD
	v_lshrrev_b32_e32 v65, 20, v5
	v_mul_u32_u24_sdwa v7, v14, s2 dst_sel:DWORD dst_unused:UNUSED_PAD src0_sel:WORD_0 src1_sel:DWORD
	v_mul_lo_u16_e32 v5, 17, v65
	v_lshrrev_b32_e32 v67, 20, v7
	v_sub_u16_e32 v66, v10, v5
	v_mul_lo_u16_e32 v7, 17, v67
	v_lshlrev_b32_e32 v5, 4, v66
	v_sub_u16_e32 v68, v14, v7
	v_lshlrev_b32_e32 v7, 4, v68
	global_load_dwordx4 v[88:91], v5, s[10:11]
	global_load_dwordx4 v[46:49], v7, s[10:11]
	v_mul_u32_u24_sdwa v5, v6, s2 dst_sel:DWORD dst_unused:UNUSED_PAD src0_sel:WORD_0 src1_sel:DWORD
	v_lshrrev_b32_e32 v69, 20, v5
	v_mul_lo_u16_e32 v5, 17, v69
	v_sub_u16_e32 v70, v6, v5
	v_mul_u32_u24_sdwa v6, v4, s2 dst_sel:DWORD dst_unused:UNUSED_PAD src0_sel:WORD_0 src1_sel:DWORD
	v_lshrrev_b32_e32 v71, 20, v6
	v_mul_lo_u16_e32 v6, 17, v71
	v_sub_u16_e32 v72, v4, v6
	v_lshlrev_b32_e32 v5, 4, v70
	v_lshlrev_b32_e32 v4, 4, v72
	global_load_dwordx4 v[96:99], v5, s[10:11]
	global_load_dwordx4 v[92:95], v4, s[10:11]
	v_mul_u32_u24_sdwa v4, v12, s2 dst_sel:DWORD dst_unused:UNUSED_PAD src0_sel:WORD_0 src1_sel:DWORD
	v_lshrrev_b32_e32 v73, 20, v4
	v_mul_lo_u16_e32 v4, 17, v73
	v_sub_u16_e32 v74, v12, v4
	v_lshlrev_b32_e32 v4, 4, v74
	global_load_dwordx4 v[100:103], v4, s[10:11]
	s_waitcnt lgkmcnt(0)
	s_barrier
	s_waitcnt vmcnt(8)
	v_mul_f64 v[4:5], v[166:167], v[30:31]
	s_waitcnt vmcnt(7)
	v_mul_f64 v[8:9], v[162:163], v[26:27]
	v_mul_f64 v[10:11], v[160:161], v[26:27]
	v_accvgpr_write_b32 a73, v27
	v_fma_f64 v[8:9], v[160:161], v[24:25], -v[8:9]
	v_accvgpr_write_b32 a72, v26
	v_accvgpr_write_b32 a71, v25
	;; [unrolled: 1-line block ×3, first 2 shown]
	v_fmac_f64_e32 v[10:11], v[162:163], v[24:25]
	v_mul_f64 v[6:7], v[164:165], v[30:31]
	v_fma_f64 v[4:5], v[164:165], v[28:29], -v[4:5]
	v_fmac_f64_e32 v[6:7], v[166:167], v[28:29]
	v_add_f64 v[8:9], v[132:133], -v[8:9]
	s_waitcnt vmcnt(6)
	v_mul_f64 v[14:15], v[170:171], v[36:37]
	v_mul_f64 v[18:19], v[168:169], v[36:37]
	v_fma_f64 v[24:25], v[168:169], v[34:35], -v[14:15]
	v_accvgpr_write_b32 a85, v37
	s_waitcnt vmcnt(5)
	v_mul_f64 v[14:15], v[154:155], v[40:41]
	v_accvgpr_write_b32 a84, v36
	v_accvgpr_write_b32 a83, v35
	;; [unrolled: 1-line block ×3, first 2 shown]
	v_fmac_f64_e32 v[18:19], v[170:171], v[34:35]
	v_fma_f64 v[34:35], v[152:153], v[38:39], -v[14:15]
	v_mul_f64 v[36:37], v[152:153], v[40:41]
	v_accvgpr_write_b32 a81, v41
	s_waitcnt vmcnt(4)
	v_mul_f64 v[14:15], v[158:159], v[90:91]
	v_accvgpr_write_b32 a80, v40
	v_accvgpr_write_b32 a79, v39
	;; [unrolled: 1-line block ×3, first 2 shown]
	v_fmac_f64_e32 v[36:37], v[154:155], v[38:39]
	v_fma_f64 v[38:39], v[156:157], v[88:89], -v[14:15]
	s_waitcnt vmcnt(3)
	v_mul_f64 v[14:15], v[142:143], v[48:49]
	v_fma_f64 v[42:43], v[140:141], v[46:47], -v[14:15]
	v_mul_f64 v[44:45], v[140:141], v[48:49]
	v_accvgpr_write_b32 a89, v49
	v_accvgpr_write_b32 a88, v48
	s_waitcnt vmcnt(2)
	v_mul_f64 v[14:15], v[146:147], v[98:99]
	v_accvgpr_write_b32 a87, v47
	v_accvgpr_write_b32 a86, v46
	v_fmac_f64_e32 v[44:45], v[142:143], v[46:47]
	v_fma_f64 v[46:47], v[144:145], v[96:97], -v[14:15]
	s_waitcnt vmcnt(1)
	v_mul_f64 v[14:15], v[2:3], v[94:95]
	v_add_f64 v[26:27], v[130:131], -v[18:19]
	v_mad_legacy_u16 v18, v33, 34, v58
	v_fma_f64 v[50:51], v[0:1], v[92:93], -v[14:15]
	v_mul_f64 v[52:53], v[0:1], v[94:95]
	s_waitcnt vmcnt(0)
	v_mul_f64 v[0:1], v[150:151], v[102:103]
	v_and_b32_e32 v18, 0xff, v18
	v_accvgpr_read_b32 v33, a68
	v_fmac_f64_e32 v[52:53], v[2:3], v[92:93]
	v_fma_f64 v[54:55], v[148:149], v[100:101], -v[0:1]
	v_add_f64 v[0:1], v[136:137], -v[4:5]
	v_add_f64 v[2:3], v[138:139], -v[6:7]
	v_lshl_add_u32 v18, v18, 4, v33
	v_fma_f64 v[4:5], v[136:137], 2.0, -v[0:1]
	ds_write_b128 v18, v[0:3] offset:272
	v_mul_u32_u24_e32 v0, 34, v59
	v_add_f64 v[10:11], v[134:135], -v[10:11]
	v_add_u32_sdwa v0, v0, v60 dst_sel:DWORD dst_unused:UNUSED_PAD src0_sel:DWORD src1_sel:BYTE_0
	v_fma_f64 v[6:7], v[138:139], 2.0, -v[2:3]
	v_fma_f64 v[14:15], v[132:133], 2.0, -v[8:9]
	;; [unrolled: 1-line block ×3, first 2 shown]
	v_lshl_add_u32 v0, v0, 4, v33
	ds_write_b128 v18, v[4:7]
	ds_write_b128 v0, v[14:17]
	v_accvgpr_write_b32 a90, v0
	ds_write_b128 v0, v[8:11] offset:272
	v_mul_u32_u24_e32 v0, 34, v61
	v_accvgpr_write_b32 a77, v31
	v_add_f64 v[24:25], v[128:129], -v[24:25]
	v_add_u32_sdwa v0, v0, v62 dst_sel:DWORD dst_unused:UNUSED_PAD src0_sel:DWORD src1_sel:BYTE_0
	v_accvgpr_write_b32 a76, v30
	v_accvgpr_write_b32 a75, v29
	;; [unrolled: 1-line block ×3, first 2 shown]
	v_fma_f64 v[28:29], v[128:129], 2.0, -v[24:25]
	v_fma_f64 v[30:31], v[130:131], 2.0, -v[26:27]
	v_lshl_add_u32 v0, v0, 4, v33
	v_mul_f64 v[40:41], v[156:157], v[90:91]
	v_add_f64 v[128:129], v[124:125], -v[34:35]
	v_add_f64 v[130:131], v[126:127], -v[36:37]
	ds_write_b128 v0, v[28:31]
	v_accvgpr_write_b32 a91, v0
	ds_write_b128 v0, v[24:27] offset:272
	v_mad_legacy_u16 v0, v63, 34, v64
	v_fmac_f64_e32 v[40:41], v[158:159], v[88:89]
	v_fma_f64 v[124:125], v[124:125], 2.0, -v[128:129]
	v_fma_f64 v[126:127], v[126:127], 2.0, -v[130:131]
	v_lshl_add_u32 v0, v0, 4, v33
	v_add_f64 v[132:133], v[120:121], -v[38:39]
	v_add_f64 v[134:135], v[122:123], -v[40:41]
	ds_write_b128 v0, v[124:127]
	v_accvgpr_write_b32 a92, v0
	ds_write_b128 v0, v[128:131] offset:272
	v_mad_legacy_u16 v0, v65, 34, v66
	v_fma_f64 v[120:121], v[120:121], 2.0, -v[132:133]
	v_fma_f64 v[122:123], v[122:123], 2.0, -v[134:135]
	v_lshl_add_u32 v0, v0, 4, v33
	v_mul_f64 v[48:49], v[144:145], v[98:99]
	v_add_f64 v[136:137], v[116:117], -v[42:43]
	v_add_f64 v[138:139], v[118:119], -v[44:45]
	ds_write_b128 v0, v[120:123]
	v_accvgpr_write_b32 a93, v0
	ds_write_b128 v0, v[132:135] offset:272
	v_mad_legacy_u16 v0, v67, 34, v68
	v_fmac_f64_e32 v[48:49], v[146:147], v[96:97]
	v_fma_f64 v[116:117], v[116:117], 2.0, -v[136:137]
	v_fma_f64 v[118:119], v[118:119], 2.0, -v[138:139]
	v_lshl_add_u32 v0, v0, 4, v33
	v_add_f64 v[140:141], v[112:113], -v[46:47]
	v_add_f64 v[142:143], v[114:115], -v[48:49]
	ds_write_b128 v0, v[116:119]
	v_accvgpr_write_b32 a95, v0
	ds_write_b128 v0, v[136:139] offset:272
	v_mad_legacy_u16 v0, v69, 34, v70
	v_fma_f64 v[112:113], v[112:113], 2.0, -v[140:141]
	v_fma_f64 v[114:115], v[114:115], 2.0, -v[142:143]
	v_lshl_add_u32 v0, v0, 4, v33
	v_add_f64 v[144:145], v[108:109], -v[50:51]
	v_add_f64 v[146:147], v[110:111], -v[52:53]
	ds_write_b128 v0, v[112:115]
	v_accvgpr_write_b32 a96, v0
	ds_write_b128 v0, v[140:143] offset:272
	v_mad_legacy_u16 v0, v71, 34, v72
	v_mul_f64 v[56:57], v[148:149], v[102:103]
	v_fma_f64 v[108:109], v[108:109], 2.0, -v[144:145]
	v_fma_f64 v[110:111], v[110:111], 2.0, -v[146:147]
	v_lshl_add_u32 v0, v0, 4, v33
	v_fmac_f64_e32 v[56:57], v[150:151], v[100:101]
	ds_write_b128 v0, v[108:111]
	v_accvgpr_write_b32 a97, v0
	ds_write_b128 v0, v[144:147] offset:272
	v_mad_legacy_u16 v0, v73, 34, v74
	v_add_f64 v[204:205], v[104:105], -v[54:55]
	v_add_f64 v[206:207], v[106:107], -v[56:57]
	v_accvgpr_write_b32 a69, v18
	v_accvgpr_write_b32 a94, v0
	s_and_saveexec_b64 s[2:3], s[0:1]
	s_cbranch_execz .LBB0_5
; %bb.4:
	v_accvgpr_read_b32 v4, a94
	v_fma_f64 v[2:3], v[106:107], 2.0, -v[206:207]
	v_fma_f64 v[0:1], v[104:105], 2.0, -v[204:205]
	v_lshl_add_u32 v4, v4, 4, v33
	ds_write_b128 v4, v[0:3]
	ds_write_b128 v4, v[204:207] offset:272
.LBB0_5:
	s_or_b64 exec, exec, s[2:3]
	s_movk_i32 s2, 0xffde
	s_mov_b32 s3, -1
	v_lshl_add_u64 v[14:15], v[20:21], 0, s[2:3]
	v_cndmask_b32_e64 v5, v15, 0, s[0:1]
	v_cndmask_b32_e64 v4, v14, v20, s[0:1]
	v_lshlrev_b64 v[0:1], 8, v[4:5]
	v_lshl_add_u64 v[0:1], s[10:11], 0, v[0:1]
	s_waitcnt lgkmcnt(0)
	s_barrier
	global_load_dwordx4 v[116:119], v[0:1], off offset:272
	global_load_dwordx4 v[112:115], v[0:1], off offset:288
	;; [unrolled: 1-line block ×16, first 2 shown]
	ds_read_b128 v[0:3], v23
	ds_read_b128 v[26:29], v23 offset:1088
	ds_read_b128 v[168:171], v23 offset:2176
	;; [unrolled: 1-line block ×16, first 2 shown]
	s_mov_b32 s28, 0x5d8e7cdc
	s_mov_b32 s44, 0x2a9d6da3
	;; [unrolled: 1-line block ×44, first 2 shown]
	v_mov_b32_e32 v5, 0x242
	v_cmp_lt_u16_e32 vcc, 33, v20
	s_waitcnt lgkmcnt(0)
	s_barrier
	v_cndmask_b32_e32 v5, 0, v5, vcc
	v_add_u32_e32 v4, v4, v5
	v_lshl_add_u32 v21, v4, 4, v33
	s_waitcnt vmcnt(15)
	v_mul_f64 v[36:37], v[26:27], v[118:119]
	v_mul_f64 v[10:11], v[28:29], v[118:119]
	s_waitcnt vmcnt(14)
	v_mul_f64 v[16:17], v[170:171], v[114:115]
	v_mul_f64 v[202:203], v[168:169], v[114:115]
	v_fmac_f64_e32 v[36:37], v[28:29], v[116:117]
	s_waitcnt vmcnt(13)
	v_mul_f64 v[24:25], v[174:175], v[110:111]
	v_fma_f64 v[54:55], v[26:27], v[116:117], -v[10:11]
	s_waitcnt vmcnt(8)
	v_mul_f64 v[46:47], v[216:217], v[122:123]
	s_waitcnt vmcnt(7)
	v_mul_f64 v[48:49], v[220:221], v[150:151]
	v_fma_f64 v[208:209], v[168:169], v[112:113], -v[16:17]
	v_fmac_f64_e32 v[202:203], v[170:171], v[112:113]
	v_fma_f64 v[16:17], v[218:219], v[148:149], -v[48:49]
	v_add_f64 v[48:49], v[2:3], v[36:37]
	v_mul_f64 v[30:31], v[176:177], v[110:111]
	v_mul_f64 v[194:195], v[182:183], v[106:107]
	v_fmac_f64_e32 v[24:25], v[176:177], v[108:109]
	v_fma_f64 v[10:11], v[214:215], v[120:121], -v[46:47]
	v_add_f64 v[46:47], v[0:1], v[54:55]
	v_add_f64 v[48:49], v[48:49], v[202:203]
	v_mul_f64 v[38:39], v[184:185], v[106:107]
	v_mul_f64 v[186:187], v[188:189], v[134:135]
	v_fma_f64 v[26:27], v[174:175], v[108:109], -v[30:31]
	v_fmac_f64_e32 v[194:195], v[184:185], v[104:105]
	v_add_f64 v[46:47], v[46:47], v[208:209]
	v_add_f64 v[48:49], v[48:49], v[24:25]
	v_mul_f64 v[40:41], v[190:191], v[134:135]
	v_mul_f64 v[178:179], v[198:199], v[130:131]
	v_fma_f64 v[196:197], v[182:183], v[104:105], -v[38:39]
	v_fmac_f64_e32 v[186:187], v[190:191], v[132:133]
	;; [unrolled: 6-line block ×4, first 2 shown]
	v_add_f64 v[46:47], v[46:47], v[188:189]
	v_add_f64 v[48:49], v[48:49], v[178:179]
	v_mul_f64 v[8:9], v[218:219], v[150:151]
	v_fma_f64 v[174:175], v[210:211], v[124:125], -v[44:45]
	v_fmac_f64_e32 v[6:7], v[216:217], v[120:121]
	v_add_f64 v[46:47], v[46:47], v[182:183]
	v_add_f64 v[48:49], v[48:49], v[18:19]
	s_waitcnt vmcnt(6)
	v_mul_f64 v[172:173], v[222:223], v[146:147]
	v_fmac_f64_e32 v[8:9], v[220:221], v[148:149]
	v_add_f64 v[46:47], v[46:47], v[174:175]
	v_add_f64 v[48:49], v[48:49], v[6:7]
	v_mul_f64 v[50:51], v[224:225], v[146:147]
	s_waitcnt vmcnt(5)
	v_mul_f64 v[180:181], v[226:227], v[142:143]
	v_fmac_f64_e32 v[172:173], v[224:225], v[144:145]
	v_add_f64 v[46:47], v[46:47], v[10:11]
	v_add_f64 v[48:49], v[48:49], v[8:9]
	v_mul_f64 v[52:53], v[228:229], v[142:143]
	v_fma_f64 v[176:177], v[222:223], v[144:145], -v[50:51]
	v_fmac_f64_e32 v[180:181], v[228:229], v[140:141]
	s_waitcnt vmcnt(4)
	v_mul_f64 v[192:193], v[230:231], v[138:139]
	v_add_f64 v[46:47], v[46:47], v[16:17]
	v_add_f64 v[48:49], v[48:49], v[172:173]
	v_fma_f64 v[184:185], v[226:227], v[140:141], -v[52:53]
	v_mul_f64 v[28:29], v[232:233], v[138:139]
	v_fmac_f64_e32 v[192:193], v[232:233], v[136:137]
	s_waitcnt vmcnt(3)
	v_mul_f64 v[200:201], v[234:235], v[166:167]
	v_add_f64 v[46:47], v[46:47], v[176:177]
	v_add_f64 v[48:49], v[48:49], v[180:181]
	v_fma_f64 v[190:191], v[230:231], v[136:137], -v[28:29]
	v_mul_f64 v[28:29], v[236:237], v[166:167]
	;; [unrolled: 7-line block ×5, first 2 shown]
	v_fmac_f64_e32 v[44:45], v[248:249], v[152:153]
	v_add_f64 v[46:47], v[46:47], v[28:29]
	v_add_f64 v[48:49], v[48:49], v[40:41]
	v_fma_f64 v[42:43], v[246:247], v[152:153], -v[42:43]
	v_add_f64 v[46:47], v[46:47], v[38:39]
	v_add_f64 v[170:171], v[48:49], v[44:45]
	;; [unrolled: 1-line block ×3, first 2 shown]
	v_add_f64 v[36:37], v[36:37], -v[44:45]
	v_add_f64 v[168:169], v[46:47], v[42:43]
	v_add_f64 v[46:47], v[54:55], v[42:43]
	v_add_f64 v[42:43], v[54:55], -v[42:43]
	v_mul_f64 v[44:45], v[36:37], s[28:29]
	v_mul_f64 v[56:57], v[36:37], s[44:45]
	;; [unrolled: 1-line block ×8, first 2 shown]
	v_fma_f64 v[50:51], v[46:47], s[22:23], -v[44:45]
	v_mul_f64 v[52:53], v[42:43], s[28:29]
	v_fmac_f64_e32 v[44:45], s[22:23], v[46:47]
	v_fma_f64 v[58:59], v[46:47], s[16:17], -v[56:57]
	v_mul_f64 v[210:211], v[42:43], s[44:45]
	v_fmac_f64_e32 v[56:57], s[16:17], v[46:47]
	;; [unrolled: 3-line block ×8, first 2 shown]
	v_add_f64 v[50:51], v[0:1], v[50:51]
	v_fma_f64 v[54:55], s[22:23], v[48:49], v[52:53]
	v_add_f64 v[44:45], v[0:1], v[44:45]
	v_fma_f64 v[52:53], v[48:49], s[22:23], -v[52:53]
	v_add_f64 v[58:59], v[0:1], v[58:59]
	v_fma_f64 v[212:213], s[16:17], v[48:49], v[210:211]
	v_add_f64 v[56:57], v[0:1], v[56:57]
	v_fma_f64 v[210:211], v[48:49], s[16:17], -v[210:211]
	;; [unrolled: 4-line block ×8, first 2 shown]
	v_add_f64 v[42:43], v[202:203], v[40:41]
	v_add_f64 v[40:41], v[202:203], -v[40:41]
	v_add_f64 v[54:55], v[2:3], v[54:55]
	v_add_f64 v[52:53], v[2:3], v[52:53]
	;; [unrolled: 1-line block ×17, first 2 shown]
	v_mul_f64 v[46:47], v[40:41], s[44:45]
	v_add_f64 v[38:39], v[208:209], -v[38:39]
	v_fma_f64 v[48:49], v[36:37], s[16:17], -v[46:47]
	v_add_f64 v[48:49], v[48:49], v[50:51]
	v_mul_f64 v[50:51], v[38:39], s[44:45]
	v_fmac_f64_e32 v[46:47], s[16:17], v[36:37]
	v_fma_f64 v[202:203], s[16:17], v[42:43], v[50:51]
	v_add_f64 v[44:45], v[46:47], v[44:45]
	v_fma_f64 v[46:47], v[42:43], s[16:17], -v[50:51]
	v_mul_f64 v[50:51], v[40:41], s[36:37]
	v_add_f64 v[46:47], v[46:47], v[52:53]
	v_fma_f64 v[52:53], v[36:37], s[2:3], -v[50:51]
	v_add_f64 v[52:53], v[52:53], v[58:59]
	v_mul_f64 v[58:59], v[38:39], s[36:37]
	v_fmac_f64_e32 v[50:51], s[2:3], v[36:37]
	v_add_f64 v[54:55], v[202:203], v[54:55]
	v_fma_f64 v[202:203], s[2:3], v[42:43], v[58:59]
	v_add_f64 v[50:51], v[50:51], v[56:57]
	v_fma_f64 v[56:57], v[42:43], s[2:3], -v[58:59]
	v_mul_f64 v[58:59], v[40:41], s[26:27]
	v_add_f64 v[56:57], v[56:57], v[210:211]
	v_fma_f64 v[208:209], v[36:37], s[24:25], -v[58:59]
	v_mul_f64 v[210:211], v[38:39], s[26:27]
	v_fmac_f64_e32 v[58:59], s[24:25], v[36:37]
	v_add_f64 v[202:203], v[202:203], v[212:213]
	v_fma_f64 v[212:213], s[24:25], v[42:43], v[210:211]
	v_add_f64 v[58:59], v[58:59], v[214:215]
	v_fma_f64 v[210:211], v[42:43], s[24:25], -v[210:211]
	v_mul_f64 v[214:215], v[40:41], s[40:41]
	v_add_f64 v[208:209], v[208:209], v[216:217]
	v_add_f64 v[210:211], v[210:211], v[218:219]
	v_fma_f64 v[216:217], v[36:37], s[38:39], -v[214:215]
	v_mul_f64 v[218:219], v[38:39], s[40:41]
	v_fmac_f64_e32 v[214:215], s[38:39], v[36:37]
	v_add_f64 v[212:213], v[212:213], v[220:221]
	v_fma_f64 v[220:221], s[38:39], v[42:43], v[218:219]
	v_add_f64 v[214:215], v[214:215], v[222:223]
	v_fma_f64 v[218:219], v[42:43], s[38:39], -v[218:219]
	v_mul_f64 v[222:223], v[40:41], s[54:55]
	v_add_f64 v[216:217], v[216:217], v[224:225]
	;; [unrolled: 10-line block ×4, first 2 shown]
	v_add_f64 v[234:235], v[234:235], v[242:243]
	v_fma_f64 v[240:241], v[36:37], s[12:13], -v[238:239]
	v_mul_f64 v[242:243], v[38:39], s[42:43]
	v_fmac_f64_e32 v[238:239], s[12:13], v[36:37]
	v_mul_f64 v[40:41], v[40:41], s[46:47]
	v_mul_f64 v[38:39], v[38:39], s[46:47]
	v_add_f64 v[240:241], v[240:241], v[248:249]
	v_add_f64 v[238:239], v[238:239], v[246:247]
	v_fma_f64 v[246:247], v[36:37], s[22:23], -v[40:41]
	v_fma_f64 v[248:249], s[22:23], v[42:43], v[38:39]
	v_fmac_f64_e32 v[40:41], s[22:23], v[36:37]
	v_fma_f64 v[36:37], v[42:43], s[22:23], -v[38:39]
	v_add_f64 v[38:39], v[24:25], v[30:31]
	v_add_f64 v[24:25], v[24:25], -v[30:31]
	v_add_f64 v[2:3], v[36:37], v[2:3]
	v_add_f64 v[36:37], v[26:27], v[28:29]
	v_add_f64 v[26:27], v[26:27], -v[28:29]
	v_mul_f64 v[28:29], v[24:25], s[50:51]
	v_add_f64 v[0:1], v[40:41], v[0:1]
	v_fma_f64 v[30:31], v[36:37], s[12:13], -v[28:29]
	v_mul_f64 v[40:41], v[26:27], s[50:51]
	v_fmac_f64_e32 v[28:29], s[12:13], v[36:37]
	v_add_f64 v[236:237], v[236:237], v[244:245]
	v_fma_f64 v[244:245], s[12:13], v[42:43], v[242:243]
	v_fma_f64 v[242:243], v[42:43], s[12:13], -v[242:243]
	v_fma_f64 v[42:43], s[12:13], v[38:39], v[40:41]
	v_add_f64 v[28:29], v[28:29], v[44:45]
	v_fma_f64 v[40:41], v[38:39], s[12:13], -v[40:41]
	v_mul_f64 v[44:45], v[24:25], s[26:27]
	v_add_f64 v[40:41], v[40:41], v[46:47]
	v_fma_f64 v[46:47], v[36:37], s[24:25], -v[44:45]
	v_fmac_f64_e32 v[44:45], s[24:25], v[36:37]
	v_add_f64 v[30:31], v[30:31], v[48:49]
	v_mul_f64 v[48:49], v[26:27], s[26:27]
	v_add_f64 v[44:45], v[44:45], v[50:51]
	v_mul_f64 v[50:51], v[24:25], s[48:49]
	v_add_f64 v[42:43], v[42:43], v[54:55]
	v_add_f64 v[46:47], v[46:47], v[52:53]
	v_fma_f64 v[52:53], s[24:25], v[38:39], v[48:49]
	v_fma_f64 v[48:49], v[38:39], s[24:25], -v[48:49]
	v_fma_f64 v[54:55], v[36:37], s[38:39], -v[50:51]
	v_fmac_f64_e32 v[50:51], s[38:39], v[36:37]
	v_add_f64 v[48:49], v[48:49], v[56:57]
	v_mul_f64 v[56:57], v[26:27], s[48:49]
	v_add_f64 v[50:51], v[50:51], v[58:59]
	v_mul_f64 v[58:59], v[24:25], s[52:53]
	v_add_f64 v[52:53], v[52:53], v[202:203]
	v_add_f64 v[54:55], v[54:55], v[208:209]
	v_fma_f64 v[202:203], s[38:39], v[38:39], v[56:57]
	v_fma_f64 v[56:57], v[38:39], s[38:39], -v[56:57]
	v_fma_f64 v[208:209], v[36:37], s[18:19], -v[58:59]
	v_fmac_f64_e32 v[58:59], s[18:19], v[36:37]
	s_mov_b32 s49, 0x3fe58eea
	s_mov_b32 s48, s44
	v_add_f64 v[56:57], v[56:57], v[210:211]
	v_mul_f64 v[210:211], v[26:27], s[52:53]
	v_add_f64 v[58:59], v[58:59], v[214:215]
	v_mul_f64 v[214:215], v[24:25], s[48:49]
	v_add_f64 v[202:203], v[202:203], v[212:213]
	v_add_f64 v[208:209], v[208:209], v[216:217]
	v_fma_f64 v[212:213], s[18:19], v[38:39], v[210:211]
	v_fma_f64 v[210:211], v[38:39], s[18:19], -v[210:211]
	v_fma_f64 v[216:217], v[36:37], s[16:17], -v[214:215]
	v_fmac_f64_e32 v[214:215], s[16:17], v[36:37]
	v_add_f64 v[210:211], v[210:211], v[218:219]
	v_mul_f64 v[218:219], v[26:27], s[48:49]
	v_add_f64 v[214:215], v[214:215], v[222:223]
	v_mul_f64 v[222:223], v[24:25], s[28:29]
	v_add_f64 v[212:213], v[212:213], v[220:221]
	v_add_f64 v[216:217], v[216:217], v[224:225]
	v_fma_f64 v[220:221], s[16:17], v[38:39], v[218:219]
	v_fma_f64 v[218:219], v[38:39], s[16:17], -v[218:219]
	v_fma_f64 v[224:225], v[36:37], s[22:23], -v[222:223]
	v_fmac_f64_e32 v[222:223], s[22:23], v[36:37]
	;; [unrolled: 10-line block ×3, first 2 shown]
	v_mul_f64 v[24:25], v[24:25], s[34:35]
	v_add_f64 v[226:227], v[226:227], v[234:235]
	v_mul_f64 v[234:235], v[26:27], s[36:37]
	v_add_f64 v[230:231], v[230:231], v[238:239]
	v_fma_f64 v[238:239], v[36:37], s[30:31], -v[24:25]
	v_mul_f64 v[26:27], v[26:27], s[34:35]
	v_fmac_f64_e32 v[24:25], s[30:31], v[36:37]
	v_add_f64 v[228:229], v[228:229], v[236:237]
	v_add_f64 v[232:233], v[232:233], v[240:241]
	v_fma_f64 v[236:237], s[2:3], v[38:39], v[234:235]
	v_fma_f64 v[234:235], v[38:39], s[2:3], -v[234:235]
	v_fma_f64 v[240:241], s[30:31], v[38:39], v[26:27]
	v_add_f64 v[0:1], v[24:25], v[0:1]
	v_fma_f64 v[24:25], v[38:39], s[30:31], -v[26:27]
	v_add_f64 v[38:39], v[194:195], -v[200:201]
	v_add_f64 v[2:3], v[24:25], v[2:3]
	v_add_f64 v[24:25], v[196:197], v[198:199]
	;; [unrolled: 1-line block ×3, first 2 shown]
	v_mul_f64 v[194:195], v[38:39], s[36:37]
	v_add_f64 v[36:37], v[196:197], -v[198:199]
	v_fma_f64 v[196:197], v[24:25], s[2:3], -v[194:195]
	v_add_f64 v[30:31], v[196:197], v[30:31]
	v_mul_f64 v[196:197], v[36:37], s[36:37]
	v_fmac_f64_e32 v[194:195], s[2:3], v[24:25]
	v_add_f64 v[28:29], v[194:195], v[28:29]
	v_fma_f64 v[194:195], v[26:27], s[2:3], -v[196:197]
	v_add_f64 v[40:41], v[194:195], v[40:41]
	v_mul_f64 v[194:195], v[38:39], s[40:41]
	v_fma_f64 v[198:199], s[2:3], v[26:27], v[196:197]
	v_fma_f64 v[196:197], v[24:25], s[38:39], -v[194:195]
	v_add_f64 v[46:47], v[196:197], v[46:47]
	v_mul_f64 v[196:197], v[36:37], s[40:41]
	v_fmac_f64_e32 v[194:195], s[38:39], v[24:25]
	v_add_f64 v[44:45], v[194:195], v[44:45]
	v_fma_f64 v[194:195], v[26:27], s[38:39], -v[196:197]
	v_add_f64 v[48:49], v[194:195], v[48:49]
	v_mul_f64 v[194:195], v[38:39], s[52:53]
	v_add_f64 v[42:43], v[198:199], v[42:43]
	v_fma_f64 v[198:199], s[38:39], v[26:27], v[196:197]
	v_fma_f64 v[196:197], v[24:25], s[18:19], -v[194:195]
	v_add_f64 v[54:55], v[196:197], v[54:55]
	v_mul_f64 v[196:197], v[36:37], s[52:53]
	v_fmac_f64_e32 v[194:195], s[18:19], v[24:25]
	v_add_f64 v[50:51], v[194:195], v[50:51]
	v_fma_f64 v[194:195], v[26:27], s[18:19], -v[196:197]
	v_add_f64 v[56:57], v[194:195], v[56:57]
	v_mul_f64 v[194:195], v[38:39], s[46:47]
	v_add_f64 v[52:53], v[198:199], v[52:53]
	v_fma_f64 v[198:199], s[18:19], v[26:27], v[196:197]
	v_fma_f64 v[196:197], v[24:25], s[22:23], -v[194:195]
	v_mul_f64 v[200:201], v[36:37], s[46:47]
	v_fmac_f64_e32 v[194:195], s[22:23], v[24:25]
	v_add_f64 v[198:199], v[198:199], v[202:203]
	v_fma_f64 v[202:203], s[22:23], v[26:27], v[200:201]
	v_add_f64 v[58:59], v[194:195], v[58:59]
	v_fma_f64 v[194:195], v[26:27], s[22:23], -v[200:201]
	v_mul_f64 v[200:201], v[38:39], s[50:51]
	v_add_f64 v[196:197], v[196:197], v[208:209]
	v_fma_f64 v[208:209], v[24:25], s[12:13], -v[200:201]
	v_fmac_f64_e32 v[200:201], s[12:13], v[24:25]
	v_add_f64 v[194:195], v[194:195], v[210:211]
	v_mul_f64 v[210:211], v[36:37], s[50:51]
	v_add_f64 v[200:201], v[200:201], v[214:215]
	v_mul_f64 v[214:215], v[38:39], s[34:35]
	v_add_f64 v[202:203], v[202:203], v[212:213]
	v_add_f64 v[208:209], v[208:209], v[216:217]
	v_fma_f64 v[212:213], s[12:13], v[26:27], v[210:211]
	v_fma_f64 v[210:211], v[26:27], s[12:13], -v[210:211]
	v_fma_f64 v[216:217], v[24:25], s[30:31], -v[214:215]
	v_fmac_f64_e32 v[214:215], s[30:31], v[24:25]
	v_add_f64 v[210:211], v[210:211], v[218:219]
	v_mul_f64 v[218:219], v[36:37], s[34:35]
	v_add_f64 v[214:215], v[214:215], v[222:223]
	v_mul_f64 v[222:223], v[38:39], s[56:57]
	v_add_f64 v[212:213], v[212:213], v[220:221]
	v_add_f64 v[216:217], v[216:217], v[224:225]
	v_fma_f64 v[220:221], s[30:31], v[26:27], v[218:219]
	v_fma_f64 v[218:219], v[26:27], s[30:31], -v[218:219]
	v_fma_f64 v[224:225], v[24:25], s[24:25], -v[222:223]
	v_fmac_f64_e32 v[222:223], s[24:25], v[24:25]
	v_mul_f64 v[38:39], v[38:39], s[48:49]
	v_add_f64 v[218:219], v[218:219], v[226:227]
	v_mul_f64 v[226:227], v[36:37], s[56:57]
	v_add_f64 v[222:223], v[222:223], v[230:231]
	v_fma_f64 v[230:231], v[24:25], s[16:17], -v[38:39]
	v_mul_f64 v[36:37], v[36:37], s[48:49]
	v_fmac_f64_e32 v[38:39], s[16:17], v[24:25]
	v_add_f64 v[0:1], v[38:39], v[0:1]
	v_fma_f64 v[24:25], v[26:27], s[16:17], -v[36:37]
	v_add_f64 v[38:39], v[186:187], -v[192:193]
	v_add_f64 v[220:221], v[220:221], v[228:229]
	v_add_f64 v[224:225], v[224:225], v[232:233]
	v_fma_f64 v[228:229], s[24:25], v[26:27], v[226:227]
	v_fma_f64 v[226:227], v[26:27], s[24:25], -v[226:227]
	v_fma_f64 v[232:233], s[16:17], v[26:27], v[36:37]
	v_add_f64 v[2:3], v[24:25], v[2:3]
	v_add_f64 v[24:25], v[188:189], v[190:191]
	;; [unrolled: 1-line block ×3, first 2 shown]
	v_mul_f64 v[186:187], v[38:39], s[20:21]
	v_add_f64 v[36:37], v[188:189], -v[190:191]
	v_fma_f64 v[188:189], v[24:25], s[18:19], -v[186:187]
	v_add_f64 v[30:31], v[188:189], v[30:31]
	v_mul_f64 v[188:189], v[36:37], s[20:21]
	v_fmac_f64_e32 v[186:187], s[18:19], v[24:25]
	v_add_f64 v[28:29], v[186:187], v[28:29]
	v_fma_f64 v[186:187], v[26:27], s[18:19], -v[188:189]
	v_add_f64 v[40:41], v[186:187], v[40:41]
	v_mul_f64 v[186:187], v[38:39], s[54:55]
	v_fma_f64 v[190:191], s[18:19], v[26:27], v[188:189]
	v_fma_f64 v[188:189], v[24:25], s[30:31], -v[186:187]
	v_add_f64 v[46:47], v[188:189], v[46:47]
	v_mul_f64 v[188:189], v[36:37], s[54:55]
	v_fmac_f64_e32 v[186:187], s[30:31], v[24:25]
	v_add_f64 v[44:45], v[186:187], v[44:45]
	v_fma_f64 v[186:187], v[26:27], s[30:31], -v[188:189]
	v_add_f64 v[48:49], v[186:187], v[48:49]
	v_mul_f64 v[186:187], v[38:39], s[48:49]
	v_add_f64 v[42:43], v[190:191], v[42:43]
	v_fma_f64 v[190:191], s[30:31], v[26:27], v[188:189]
	v_fma_f64 v[188:189], v[24:25], s[16:17], -v[186:187]
	v_add_f64 v[54:55], v[188:189], v[54:55]
	v_mul_f64 v[188:189], v[36:37], s[48:49]
	v_fmac_f64_e32 v[186:187], s[16:17], v[24:25]
	v_add_f64 v[50:51], v[186:187], v[50:51]
	v_fma_f64 v[186:187], v[26:27], s[16:17], -v[188:189]
	v_add_f64 v[56:57], v[186:187], v[56:57]
	v_mul_f64 v[186:187], v[38:39], s[50:51]
	v_add_f64 v[52:53], v[190:191], v[52:53]
	v_fma_f64 v[190:191], s[16:17], v[26:27], v[188:189]
	v_fma_f64 v[188:189], v[24:25], s[12:13], -v[186:187]
	v_mul_f64 v[192:193], v[36:37], s[50:51]
	v_fmac_f64_e32 v[186:187], s[12:13], v[24:25]
	v_add_f64 v[188:189], v[188:189], v[196:197]
	v_fma_f64 v[196:197], s[12:13], v[26:27], v[192:193]
	v_add_f64 v[58:59], v[186:187], v[58:59]
	v_fma_f64 v[186:187], v[26:27], s[12:13], -v[192:193]
	v_mul_f64 v[192:193], v[38:39], s[40:41]
	v_add_f64 v[186:187], v[186:187], v[194:195]
	v_fma_f64 v[194:195], v[24:25], s[38:39], -v[192:193]
	v_fmac_f64_e32 v[192:193], s[38:39], v[24:25]
	s_mov_b32 s51, 0x3fefdd0d
	s_mov_b32 s50, s36
	v_add_f64 v[190:191], v[190:191], v[198:199]
	v_mul_f64 v[198:199], v[36:37], s[40:41]
	v_add_f64 v[192:193], v[192:193], v[200:201]
	v_mul_f64 v[200:201], v[38:39], s[50:51]
	v_add_f64 v[196:197], v[196:197], v[202:203]
	v_add_f64 v[194:195], v[194:195], v[208:209]
	v_fma_f64 v[202:203], s[38:39], v[26:27], v[198:199]
	v_fma_f64 v[198:199], v[26:27], s[38:39], -v[198:199]
	v_fma_f64 v[208:209], v[24:25], s[2:3], -v[200:201]
	v_fmac_f64_e32 v[200:201], s[2:3], v[24:25]
	v_add_f64 v[198:199], v[198:199], v[210:211]
	v_mul_f64 v[210:211], v[36:37], s[50:51]
	v_add_f64 v[200:201], v[200:201], v[214:215]
	v_mul_f64 v[214:215], v[38:39], s[28:29]
	v_add_f64 v[202:203], v[202:203], v[212:213]
	v_add_f64 v[208:209], v[208:209], v[216:217]
	v_fma_f64 v[212:213], s[2:3], v[26:27], v[210:211]
	v_fma_f64 v[210:211], v[26:27], s[2:3], -v[210:211]
	v_fma_f64 v[216:217], v[24:25], s[22:23], -v[214:215]
	v_fmac_f64_e32 v[214:215], s[22:23], v[24:25]
	v_mul_f64 v[38:39], v[38:39], s[26:27]
	v_add_f64 v[210:211], v[210:211], v[218:219]
	v_mul_f64 v[218:219], v[36:37], s[28:29]
	v_add_f64 v[214:215], v[214:215], v[222:223]
	v_fma_f64 v[222:223], v[24:25], s[24:25], -v[38:39]
	v_mul_f64 v[36:37], v[36:37], s[26:27]
	v_fmac_f64_e32 v[38:39], s[24:25], v[24:25]
	v_add_f64 v[0:1], v[38:39], v[0:1]
	v_fma_f64 v[24:25], v[26:27], s[24:25], -v[36:37]
	v_add_f64 v[38:39], v[178:179], -v[180:181]
	v_add_f64 v[212:213], v[212:213], v[220:221]
	v_add_f64 v[216:217], v[216:217], v[224:225]
	v_fma_f64 v[220:221], s[22:23], v[26:27], v[218:219]
	v_fma_f64 v[218:219], v[26:27], s[22:23], -v[218:219]
	v_fma_f64 v[224:225], s[24:25], v[26:27], v[36:37]
	v_add_f64 v[2:3], v[24:25], v[2:3]
	v_add_f64 v[24:25], v[182:183], v[184:185]
	;; [unrolled: 1-line block ×3, first 2 shown]
	v_mul_f64 v[178:179], v[38:39], s[26:27]
	v_add_f64 v[36:37], v[182:183], -v[184:185]
	v_fma_f64 v[180:181], v[24:25], s[24:25], -v[178:179]
	v_add_f64 v[30:31], v[180:181], v[30:31]
	v_mul_f64 v[180:181], v[36:37], s[26:27]
	v_fmac_f64_e32 v[178:179], s[24:25], v[24:25]
	v_add_f64 v[28:29], v[178:179], v[28:29]
	v_fma_f64 v[178:179], v[26:27], s[24:25], -v[180:181]
	v_add_f64 v[40:41], v[178:179], v[40:41]
	v_mul_f64 v[178:179], v[38:39], s[52:53]
	v_fma_f64 v[182:183], s[24:25], v[26:27], v[180:181]
	v_fma_f64 v[180:181], v[24:25], s[18:19], -v[178:179]
	v_add_f64 v[46:47], v[180:181], v[46:47]
	v_mul_f64 v[180:181], v[36:37], s[52:53]
	v_fmac_f64_e32 v[178:179], s[18:19], v[24:25]
	v_add_f64 v[44:45], v[178:179], v[44:45]
	v_fma_f64 v[178:179], v[26:27], s[18:19], -v[180:181]
	v_add_f64 v[48:49], v[178:179], v[48:49]
	v_mul_f64 v[178:179], v[38:39], s[28:29]
	v_add_f64 v[42:43], v[182:183], v[42:43]
	v_fma_f64 v[182:183], s[18:19], v[26:27], v[180:181]
	v_fma_f64 v[180:181], v[24:25], s[22:23], -v[178:179]
	v_add_f64 v[54:55], v[180:181], v[54:55]
	v_mul_f64 v[180:181], v[36:37], s[28:29]
	v_fmac_f64_e32 v[178:179], s[22:23], v[24:25]
	v_add_f64 v[50:51], v[178:179], v[50:51]
	v_fma_f64 v[178:179], v[26:27], s[22:23], -v[180:181]
	v_add_f64 v[56:57], v[178:179], v[56:57]
	v_mul_f64 v[178:179], v[38:39], s[34:35]
	v_add_f64 v[52:53], v[182:183], v[52:53]
	v_fma_f64 v[182:183], s[22:23], v[26:27], v[180:181]
	v_fma_f64 v[180:181], v[24:25], s[30:31], -v[178:179]
	v_mul_f64 v[184:185], v[36:37], s[34:35]
	v_fmac_f64_e32 v[178:179], s[30:31], v[24:25]
	v_add_f64 v[180:181], v[180:181], v[188:189]
	v_fma_f64 v[188:189], s[30:31], v[26:27], v[184:185]
	v_add_f64 v[58:59], v[178:179], v[58:59]
	v_fma_f64 v[178:179], v[26:27], s[30:31], -v[184:185]
	v_mul_f64 v[184:185], v[38:39], s[50:51]
	v_add_f64 v[182:183], v[182:183], v[190:191]
	v_add_f64 v[178:179], v[178:179], v[186:187]
	v_fma_f64 v[186:187], v[24:25], s[2:3], -v[184:185]
	v_mul_f64 v[190:191], v[36:37], s[50:51]
	v_fmac_f64_e32 v[184:185], s[2:3], v[24:25]
	v_add_f64 v[186:187], v[186:187], v[194:195]
	v_fma_f64 v[194:195], s[2:3], v[26:27], v[190:191]
	v_add_f64 v[184:185], v[184:185], v[192:193]
	v_fma_f64 v[190:191], v[26:27], s[2:3], -v[190:191]
	v_mul_f64 v[192:193], v[38:39], s[44:45]
	v_add_f64 v[188:189], v[188:189], v[196:197]
	v_add_f64 v[190:191], v[190:191], v[198:199]
	;; [unrolled: 10-line block ×3, first 2 shown]
	v_fma_f64 v[208:209], v[24:25], s[38:39], -v[200:201]
	v_mul_f64 v[210:211], v[36:37], s[40:41]
	v_fmac_f64_e32 v[200:201], s[38:39], v[24:25]
	v_mul_f64 v[38:39], v[38:39], s[42:43]
	v_mul_f64 v[36:37], v[36:37], s[42:43]
	v_add_f64 v[202:203], v[202:203], v[212:213]
	v_add_f64 v[208:209], v[208:209], v[216:217]
	v_fma_f64 v[212:213], s[38:39], v[26:27], v[210:211]
	v_add_f64 v[200:201], v[200:201], v[214:215]
	v_fma_f64 v[210:211], v[26:27], s[38:39], -v[210:211]
	v_fma_f64 v[214:215], v[24:25], s[12:13], -v[38:39]
	v_fma_f64 v[216:217], s[12:13], v[26:27], v[36:37]
	v_fmac_f64_e32 v[38:39], s[12:13], v[24:25]
	v_fma_f64 v[24:25], v[26:27], s[12:13], -v[36:37]
	v_add_f64 v[26:27], v[18:19], v[172:173]
	v_add_f64 v[18:19], v[18:19], -v[172:173]
	v_add_f64 v[0:1], v[38:39], v[0:1]
	v_add_f64 v[2:3], v[24:25], v[2:3]
	;; [unrolled: 1-line block ×3, first 2 shown]
	v_mul_f64 v[38:39], v[18:19], s[34:35]
	v_add_f64 v[36:37], v[174:175], -v[176:177]
	v_fma_f64 v[172:173], v[24:25], s[30:31], -v[38:39]
	v_add_f64 v[30:31], v[172:173], v[30:31]
	v_mul_f64 v[172:173], v[36:37], s[34:35]
	v_fmac_f64_e32 v[38:39], s[30:31], v[24:25]
	v_add_f64 v[28:29], v[38:39], v[28:29]
	v_fma_f64 v[38:39], v[26:27], s[30:31], -v[172:173]
	v_add_f64 v[38:39], v[38:39], v[40:41]
	v_mul_f64 v[40:41], v[18:19], s[42:43]
	v_fma_f64 v[174:175], s[30:31], v[26:27], v[172:173]
	v_fma_f64 v[172:173], v[24:25], s[12:13], -v[40:41]
	v_add_f64 v[46:47], v[172:173], v[46:47]
	v_mul_f64 v[172:173], v[36:37], s[42:43]
	v_fmac_f64_e32 v[40:41], s[12:13], v[24:25]
	v_add_f64 v[40:41], v[40:41], v[44:45]
	v_fma_f64 v[44:45], v[26:27], s[12:13], -v[172:173]
	v_add_f64 v[44:45], v[44:45], v[48:49]
	v_mul_f64 v[48:49], v[18:19], s[36:37]
	v_add_f64 v[42:43], v[174:175], v[42:43]
	v_fma_f64 v[174:175], s[12:13], v[26:27], v[172:173]
	v_fma_f64 v[172:173], v[24:25], s[2:3], -v[48:49]
	v_add_f64 v[54:55], v[172:173], v[54:55]
	v_mul_f64 v[172:173], v[36:37], s[36:37]
	v_fmac_f64_e32 v[48:49], s[2:3], v[24:25]
	v_add_f64 v[48:49], v[48:49], v[50:51]
	v_fma_f64 v[50:51], v[26:27], s[2:3], -v[172:173]
	v_add_f64 v[50:51], v[50:51], v[56:57]
	v_mul_f64 v[56:57], v[18:19], s[56:57]
	v_add_f64 v[52:53], v[174:175], v[52:53]
	v_fma_f64 v[174:175], s[2:3], v[26:27], v[172:173]
	v_fma_f64 v[172:173], v[24:25], s[24:25], -v[56:57]
	v_mul_f64 v[176:177], v[36:37], s[56:57]
	v_fmac_f64_e32 v[56:57], s[24:25], v[24:25]
	v_add_f64 v[172:173], v[172:173], v[180:181]
	v_fma_f64 v[180:181], s[24:25], v[26:27], v[176:177]
	v_add_f64 v[56:57], v[56:57], v[58:59]
	v_fma_f64 v[58:59], v[26:27], s[24:25], -v[176:177]
	v_mul_f64 v[176:177], v[18:19], s[28:29]
	v_add_f64 v[58:59], v[58:59], v[178:179]
	v_fma_f64 v[178:179], v[24:25], s[22:23], -v[176:177]
	v_add_f64 v[174:175], v[174:175], v[182:183]
	v_add_f64 v[182:183], v[178:179], v[186:187]
	v_mul_f64 v[178:179], v[36:37], s[28:29]
	v_fmac_f64_e32 v[176:177], s[22:23], v[24:25]
	v_add_f64 v[184:185], v[176:177], v[184:185]
	v_fma_f64 v[176:177], v[26:27], s[22:23], -v[178:179]
	v_add_f64 v[180:181], v[180:181], v[188:189]
	v_add_f64 v[188:189], v[176:177], v[190:191]
	v_mul_f64 v[176:177], v[18:19], s[40:41]
	v_fma_f64 v[186:187], s[22:23], v[26:27], v[178:179]
	v_fma_f64 v[178:179], v[24:25], s[38:39], -v[176:177]
	v_add_f64 v[190:191], v[178:179], v[196:197]
	v_mul_f64 v[178:179], v[36:37], s[40:41]
	v_fmac_f64_e32 v[176:177], s[38:39], v[24:25]
	v_add_f64 v[244:245], v[244:245], v[252:253]
	v_add_f64 v[242:243], v[242:243], v[250:251]
	;; [unrolled: 1-line block ×3, first 2 shown]
	v_fma_f64 v[176:177], v[26:27], s[38:39], -v[178:179]
	v_add_f64 v[246:247], v[246:247], v[254:255]
	v_add_f64 v[236:237], v[236:237], v[244:245]
	;; [unrolled: 1-line block ×4, first 2 shown]
	v_mul_f64 v[176:177], v[18:19], s[48:49]
	v_add_f64 v[34:35], v[248:249], v[34:35]
	v_add_f64 v[238:239], v[238:239], v[246:247]
	;; [unrolled: 1-line block ×5, first 2 shown]
	v_fma_f64 v[194:195], s[38:39], v[26:27], v[178:179]
	v_fma_f64 v[178:179], v[24:25], s[16:17], -v[176:177]
	v_add_f64 v[34:35], v[240:241], v[34:35]
	v_add_f64 v[230:231], v[230:231], v[238:239]
	;; [unrolled: 1-line block ×5, first 2 shown]
	v_mul_f64 v[178:179], v[36:37], s[48:49]
	v_fmac_f64_e32 v[176:177], s[16:17], v[24:25]
	v_add_f64 v[34:35], v[232:233], v[34:35]
	v_add_f64 v[222:223], v[222:223], v[230:231]
	;; [unrolled: 1-line block ×5, first 2 shown]
	v_fma_f64 v[202:203], s[16:17], v[26:27], v[178:179]
	v_add_f64 v[200:201], v[176:177], v[200:201]
	v_fma_f64 v[176:177], v[26:27], s[16:17], -v[178:179]
	v_mul_f64 v[18:19], v[18:19], s[20:21]
	v_add_f64 v[34:35], v[224:225], v[34:35]
	v_add_f64 v[214:215], v[214:215], v[222:223]
	;; [unrolled: 1-line block ×4, first 2 shown]
	v_fma_f64 v[176:177], v[24:25], s[18:19], -v[18:19]
	v_mul_f64 v[36:37], v[36:37], s[20:21]
	v_fmac_f64_e32 v[18:19], s[18:19], v[24:25]
	v_add_f64 v[222:223], v[6:7], -v[8:9]
	v_add_f64 v[34:35], v[216:217], v[34:35]
	v_add_f64 v[216:217], v[18:19], v[0:1]
	v_fma_f64 v[0:1], v[26:27], s[18:19], -v[36:37]
	v_add_f64 v[218:219], v[10:11], v[16:17]
	v_add_f64 v[220:221], v[6:7], v[8:9]
	v_add_f64 v[10:11], v[10:11], -v[16:17]
	v_mul_f64 v[6:7], v[222:223], s[40:41]
	v_add_f64 v[214:215], v[176:177], v[214:215]
	v_fma_f64 v[176:177], s[18:19], v[26:27], v[36:37]
	v_add_f64 v[36:37], v[0:1], v[2:3]
	v_fma_f64 v[0:1], v[218:219], s[38:39], -v[6:7]
	v_mul_f64 v[8:9], v[10:11], s[40:41]
	v_fmac_f64_e32 v[6:7], s[38:39], v[218:219]
	v_add_f64 v[208:209], v[6:7], v[28:29]
	v_fma_f64 v[6:7], v[220:221], s[38:39], -v[8:9]
	v_mul_f64 v[16:17], v[222:223], s[46:47]
	v_add_f64 v[210:211], v[6:7], v[38:39]
	v_fma_f64 v[6:7], v[218:219], s[22:23], -v[16:17]
	v_fmac_f64_e32 v[16:17], s[22:23], v[218:219]
	v_mul_f64 v[38:39], v[222:223], s[48:49]
	v_add_f64 v[16:17], v[16:17], v[40:41]
	v_fma_f64 v[40:41], v[218:219], s[16:17], -v[38:39]
	v_add_f64 v[172:173], v[40:41], v[172:173]
	v_mul_f64 v[40:41], v[10:11], s[48:49]
	v_fmac_f64_e32 v[38:39], s[16:17], v[218:219]
	v_add_f64 v[34:35], v[176:177], v[34:35]
	v_add_f64 v[176:177], v[38:39], v[56:57]
	v_fma_f64 v[38:39], v[220:221], s[16:17], -v[40:41]
	v_add_f64 v[0:1], v[0:1], v[30:31]
	v_fma_f64 v[2:3], s[38:39], v[220:221], v[8:9]
	v_mul_f64 v[30:31], v[10:11], s[34:35]
	v_add_f64 v[178:179], v[38:39], v[58:59]
	v_mul_f64 v[38:39], v[222:223], s[26:27]
	v_add_f64 v[2:3], v[2:3], v[42:43]
	v_fma_f64 v[26:27], s[30:31], v[220:221], v[30:31]
	v_fma_f64 v[42:43], s[16:17], v[220:221], v[40:41]
	v_fma_f64 v[40:41], v[218:219], s[24:25], -v[38:39]
	v_add_f64 v[26:27], v[26:27], v[174:175]
	v_add_f64 v[174:175], v[42:43], v[180:181]
	;; [unrolled: 1-line block ×3, first 2 shown]
	v_mul_f64 v[40:41], v[10:11], s[26:27]
	v_fmac_f64_e32 v[38:39], s[24:25], v[218:219]
	v_fma_f64 v[42:43], s[24:25], v[220:221], v[40:41]
	v_add_f64 v[184:185], v[38:39], v[184:185]
	v_fma_f64 v[38:39], v[220:221], s[24:25], -v[40:41]
	v_add_f64 v[182:183], v[42:43], v[186:187]
	v_add_f64 v[186:187], v[38:39], v[188:189]
	v_mul_f64 v[38:39], v[222:223], s[42:43]
	v_fma_f64 v[40:41], v[218:219], s[12:13], -v[38:39]
	v_add_f64 v[188:189], v[40:41], v[190:191]
	v_mul_f64 v[40:41], v[10:11], s[42:43]
	v_fmac_f64_e32 v[38:39], s[12:13], v[218:219]
	v_fma_f64 v[42:43], s[12:13], v[220:221], v[40:41]
	v_add_f64 v[192:193], v[38:39], v[192:193]
	v_fma_f64 v[38:39], v[220:221], s[12:13], -v[40:41]
	v_add_f64 v[190:191], v[42:43], v[194:195]
	v_add_f64 v[194:195], v[38:39], v[196:197]
	v_mul_f64 v[38:39], v[222:223], s[20:21]
	v_fma_f64 v[40:41], v[218:219], s[18:19], -v[38:39]
	v_add_f64 v[196:197], v[40:41], v[198:199]
	v_mul_f64 v[40:41], v[10:11], s[20:21]
	v_fmac_f64_e32 v[38:39], s[18:19], v[218:219]
	v_fma_f64 v[42:43], s[18:19], v[220:221], v[40:41]
	v_add_f64 v[200:201], v[38:39], v[200:201]
	v_fma_f64 v[38:39], v[220:221], s[18:19], -v[40:41]
	v_add_f64 v[198:199], v[42:43], v[202:203]
	v_add_f64 v[202:203], v[38:39], v[212:213]
	v_mul_f64 v[38:39], v[222:223], s[50:51]
	v_mul_f64 v[18:19], v[10:11], s[46:47]
	v_fma_f64 v[40:41], v[218:219], s[2:3], -v[38:39]
	v_mul_f64 v[10:11], v[10:11], s[50:51]
	v_fma_f64 v[8:9], s[22:23], v[220:221], v[18:19]
	v_mul_f64 v[28:29], v[222:223], s[34:35]
	v_add_f64 v[212:213], v[40:41], v[214:215]
	v_fma_f64 v[40:41], s[2:3], v[220:221], v[10:11]
	v_fmac_f64_e32 v[38:39], s[2:3], v[218:219]
	v_fma_f64 v[10:11], v[220:221], s[2:3], -v[10:11]
	v_add_f64 v[6:7], v[6:7], v[46:47]
	v_add_f64 v[8:9], v[8:9], v[52:53]
	v_fma_f64 v[18:19], v[220:221], s[22:23], -v[18:19]
	v_fma_f64 v[24:25], v[218:219], s[30:31], -v[28:29]
	v_fmac_f64_e32 v[28:29], s[30:31], v[218:219]
	v_fma_f64 v[30:31], v[220:221], s[30:31], -v[30:31]
	v_add_f64 v[214:215], v[40:41], v[34:35]
	v_add_f64 v[216:217], v[38:39], v[216:217]
	;; [unrolled: 1-line block ×7, first 2 shown]
	ds_write_b128 v21, v[168:171]
	ds_write_b128 v21, v[0:3] offset:544
	ds_write_b128 v21, v[6:9] offset:1088
	;; [unrolled: 1-line block ×16, first 2 shown]
	s_waitcnt lgkmcnt(0)
	s_barrier
	ds_read_b128 v[240:243], v23
	ds_read_b128 v[236:239], v23 offset:1088
	ds_read_b128 v[172:175], v23 offset:9248
	;; [unrolled: 1-line block ×15, first 2 shown]
	s_and_saveexec_b64 s[2:3], s[0:1]
	s_cbranch_execz .LBB0_7
; %bb.6:
	ds_read_b128 v[208:211], v23 offset:8704
	ds_read_b128 v[204:207], v23 offset:17952
	v_mov_b64_e32 v[14:15], v[12:13]
.LBB0_7:
	s_or_b64 exec, exec, s[2:3]
	v_lshlrev_b32_e32 v12, 4, v20
	v_mov_b32_e32 v13, 0
	v_lshl_add_u64 v[34:35], s[10:11], 0, v[12:13]
	s_movk_i32 s2, 0x2000
	v_add_co_u32_e32 v16, vcc, s2, v34
	s_movk_i32 s3, 0x3000
	s_nop 0
	v_addc_co_u32_e32 v17, vcc, 0, v35, vcc
	global_load_dwordx4 v[168:171], v[16:17], off offset:784
	v_add_co_u32_e32 v36, vcc, s3, v34
	s_movk_i32 s12, 0x4000
	s_nop 0
	v_addc_co_u32_e32 v37, vcc, 0, v35, vcc
	global_load_dwordx4 v[192:195], v[36:37], off offset:3216
	v_lshl_add_u32 v33, v20, 4, v33
	s_waitcnt vmcnt(1) lgkmcnt(13)
	v_mul_f64 v[18:19], v[174:175], v[170:171]
	v_mul_f64 v[24:25], v[172:173], v[170:171]
	v_fma_f64 v[26:27], v[172:173], v[168:169], -v[18:19]
	v_fmac_f64_e32 v[24:25], v[174:175], v[168:169]
	global_load_dwordx4 v[172:175], v[16:17], off offset:1872
	s_waitcnt vmcnt(0) lgkmcnt(12)
	v_mul_f64 v[18:19], v[178:179], v[174:175]
	v_mul_f64 v[28:29], v[176:177], v[174:175]
	v_fma_f64 v[30:31], v[176:177], v[172:173], -v[18:19]
	v_fmac_f64_e32 v[28:29], v[178:179], v[172:173]
	global_load_dwordx4 v[176:179], v[16:17], off offset:2960
	;; [unrolled: 6-line block ×4, first 2 shown]
	v_add_f64 v[250:251], v[228:229], -v[250:251]
	v_fma_f64 v[228:229], v[228:229], 2.0, -v[250:251]
	s_waitcnt vmcnt(0) lgkmcnt(5)
	v_mul_f64 v[16:17], v[190:191], v[186:187]
	v_mul_f64 v[244:245], v[188:189], v[186:187]
	v_fma_f64 v[246:247], v[188:189], v[184:185], -v[16:17]
	v_fmac_f64_e32 v[244:245], v[190:191], v[184:185]
	global_load_dwordx4 v[188:191], v[36:37], off offset:2128
	v_add_f64 v[246:247], v[224:225], -v[246:247]
	v_fma_f64 v[224:225], v[224:225], 2.0, -v[246:247]
	s_waitcnt vmcnt(0) lgkmcnt(4)
	v_mul_f64 v[16:17], v[10:11], v[190:191]
	v_fma_f64 v[18:19], v[8:9], v[188:189], -v[16:17]
	v_mul_f64 v[16:17], v[8:9], v[190:191]
	s_waitcnt lgkmcnt(1)
	v_mul_f64 v[8:9], v[6:7], v[194:195]
	v_fmac_f64_e32 v[16:17], v[10:11], v[188:189]
	v_fma_f64 v[10:11], v[4:5], v[192:193], -v[8:9]
	v_mul_f64 v[8:9], v[4:5], v[194:195]
	v_add_co_u32_e32 v4, vcc, s12, v34
	v_fmac_f64_e32 v[8:9], v[6:7], v[192:193]
	s_nop 0
	v_addc_co_u32_e32 v5, vcc, 0, v35, vcc
	global_load_dwordx4 v[196:199], v[4:5], off offset:208
	v_add_f64 v[16:17], v[222:223], -v[16:17]
	v_add_f64 v[6:7], v[216:217], -v[10:11]
	;; [unrolled: 1-line block ×3, first 2 shown]
	v_fma_f64 v[222:223], v[222:223], 2.0, -v[16:17]
	v_fma_f64 v[216:217], v[216:217], 2.0, -v[6:7]
	;; [unrolled: 1-line block ×3, first 2 shown]
	s_waitcnt vmcnt(0) lgkmcnt(0)
	v_mul_f64 v[4:5], v[2:3], v[198:199]
	v_fma_f64 v[4:5], v[0:1], v[196:197], -v[4:5]
	v_mul_f64 v[0:1], v[0:1], v[198:199]
	v_fmac_f64_e32 v[0:1], v[2:3], v[196:197]
	v_lshl_add_u64 v[2:3], v[14:15], 4, s[10:11]
	v_add_co_u32_e32 v2, vcc, s2, v2
	v_add_f64 v[14:15], v[220:221], -v[18:19]
	s_nop 0
	v_addc_co_u32_e32 v3, vcc, 0, v3, vcc
	global_load_dwordx4 v[36:39], v[2:3], off offset:784
	v_fma_f64 v[220:221], v[220:221], 2.0, -v[14:15]
	s_waitcnt vmcnt(0)
	v_mul_f64 v[2:3], v[206:207], v[38:39]
	v_mul_f64 v[40:41], v[204:205], v[38:39]
	v_accvgpr_write_b32 a101, v39
	v_fma_f64 v[34:35], v[204:205], v[36:37], -v[2:3]
	v_accvgpr_write_b32 a100, v38
	v_accvgpr_write_b32 a99, v37
	;; [unrolled: 1-line block ×3, first 2 shown]
	v_fmac_f64_e32 v[40:41], v[206:207], v[36:37]
	v_add_f64 v[36:37], v[240:241], -v[26:27]
	v_add_f64 v[38:39], v[242:243], -v[24:25]
	v_fma_f64 v[24:25], v[240:241], 2.0, -v[36:37]
	v_fma_f64 v[26:27], v[242:243], 2.0, -v[38:39]
	v_add_f64 v[240:241], v[236:237], -v[30:31]
	v_add_f64 v[242:243], v[238:239], -v[28:29]
	v_fma_f64 v[28:29], v[236:237], 2.0, -v[240:241]
	v_fma_f64 v[30:31], v[238:239], 2.0, -v[242:243]
	v_add_f64 v[236:237], v[232:233], -v[254:255]
	v_add_f64 v[238:239], v[234:235], -v[252:253]
	;; [unrolled: 1-line block ×8, first 2 shown]
	v_fma_f64 v[232:233], v[232:233], 2.0, -v[236:237]
	v_fma_f64 v[234:235], v[234:235], 2.0, -v[238:239]
	;; [unrolled: 1-line block ×6, first 2 shown]
	ds_write_b128 v23, v[24:27]
	ds_write_b128 v33, v[36:39] offset:9248
	ds_write_b128 v23, v[28:31] offset:1088
	ds_write_b128 v33, v[240:243] offset:10336
	ds_write_b128 v23, v[232:235] offset:2176
	ds_write_b128 v33, v[236:239] offset:11424
	ds_write_b128 v23, v[228:231] offset:3264
	ds_write_b128 v33, v[250:253] offset:12512
	ds_write_b128 v23, v[224:227] offset:4352
	ds_write_b128 v33, v[246:249] offset:13600
	ds_write_b128 v23, v[220:223] offset:5440
	ds_write_b128 v33, v[14:17] offset:14688
	ds_write_b128 v23, v[216:219] offset:6528
	ds_write_b128 v23, v[6:9] offset:15776
	ds_write_b128 v23, v[212:215] offset:7616
	ds_write_b128 v23, v[2:5] offset:16864
	s_and_saveexec_b64 s[2:3], s[0:1]
	s_cbranch_execz .LBB0_9
; %bb.8:
	v_fma_f64 v[2:3], v[210:211], 2.0, -v[206:207]
	v_fma_f64 v[0:1], v[208:209], 2.0, -v[204:205]
	ds_write_b128 v23, v[0:3] offset:8704
	ds_write_b128 v33, v[204:207] offset:17952
.LBB0_9:
	s_or_b64 exec, exec, s[2:3]
	v_lshl_add_u64 v[12:13], s[8:9], 0, v[12:13]
	s_mov_b64 s[2:3], 0x4840
	v_lshl_add_u64 v[4:5], v[12:13], 0, s[2:3]
	s_movk_i32 s2, 0x5000
	v_add_co_u32_e32 v6, vcc, s12, v12
	v_add_co_u32_e64 v0, s[2:3], s2, v12
	s_waitcnt lgkmcnt(0)
	s_barrier
	global_load_dwordx4 v[208:211], v[4:5], off offset:1088
	global_load_dwordx4 v[216:219], v[4:5], off offset:2176
	v_addc_co_u32_e64 v1, s[2:3], 0, v13, s[2:3]
	v_addc_co_u32_e32 v7, vcc, 0, v13, vcc
	global_load_dwordx4 v[232:235], v[0:1], off offset:2368
	s_nop 0
	global_load_dwordx4 v[0:3], v[0:1], off offset:3456
	s_nop 0
	global_load_dwordx4 v[228:231], v[6:7], off offset:2112
	global_load_dwordx4 v[8:11], v[4:5], off offset:3264
	s_movk_i32 s2, 0x6000
	v_add_co_u32_e32 v4, vcc, s2, v12
	s_movk_i32 s2, 0x7000
	s_nop 0
	v_addc_co_u32_e32 v5, vcc, 0, v13, vcc
	global_load_dwordx4 v[212:215], v[4:5], off offset:448
	global_load_dwordx4 v[220:223], v[4:5], off offset:1536
	;; [unrolled: 1-line block ×3, first 2 shown]
	s_nop 0
	global_load_dwordx4 v[4:7], v[4:5], off offset:3712
	v_add_co_u32_e32 v18, vcc, s2, v12
	s_mov_b32 s2, 0x8000
	s_nop 0
	v_addc_co_u32_e32 v19, vcc, 0, v13, vcc
	global_load_dwordx4 v[236:239], v[18:19], off offset:704
	global_load_dwordx4 v[240:243], v[18:19], off offset:1792
	ds_read_b128 v[14:17], v23
	ds_read_b128 v[24:27], v23 offset:1088
	ds_read_b128 v[28:31], v23 offset:2176
	;; [unrolled: 1-line block ×3, first 2 shown]
	global_load_dwordx4 v[244:247], v[18:19], off offset:2880
	ds_read_b128 v[248:251], v23 offset:4352
	ds_read_b128 v[252:255], v23 offset:5440
	global_load_dwordx4 v[40:43], v[18:19], off offset:3968
	v_add_co_u32_e32 v12, vcc, s2, v12
	s_mov_b32 s20, 0x2a9d6da3
	s_nop 0
	v_addc_co_u32_e32 v13, vcc, 0, v13, vcc
	global_load_dwordx4 v[44:47], v[12:13], off offset:960
	global_load_dwordx4 v[48:51], v[12:13], off offset:2048
	;; [unrolled: 1-line block ×3, first 2 shown]
	s_mov_b32 s12, 0x7c9e640b
	s_mov_b32 s2, 0xeb564b22
	;; [unrolled: 1-line block ×45, first 2 shown]
	s_waitcnt vmcnt(16) lgkmcnt(4)
	v_mul_f64 v[18:19], v[26:27], v[210:211]
	v_mul_f64 v[58:59], v[24:25], v[210:211]
	s_waitcnt vmcnt(15) lgkmcnt(3)
	v_mul_f64 v[60:61], v[30:31], v[218:219]
	v_mul_f64 v[210:211], v[28:29], v[218:219]
	v_fma_f64 v[56:57], v[24:25], v[208:209], -v[18:19]
	s_waitcnt vmcnt(14) lgkmcnt(1)
	v_mul_f64 v[62:63], v[250:251], v[234:235]
	v_mul_f64 v[12:13], v[248:249], v[234:235]
	v_fmac_f64_e32 v[58:59], v[26:27], v[208:209]
	s_waitcnt vmcnt(13) lgkmcnt(0)
	v_mul_f64 v[234:235], v[254:255], v[2:3]
	v_mul_f64 v[218:219], v[252:253], v[2:3]
	s_waitcnt vmcnt(12)
	v_mul_f64 v[2:3], v[14:15], v[230:231]
	v_fma_f64 v[208:209], v[28:29], v[216:217], -v[60:61]
	v_fmac_f64_e32 v[210:211], v[30:31], v[216:217]
	s_waitcnt vmcnt(11)
	v_mul_f64 v[24:25], v[38:39], v[10:11]
	v_mul_f64 v[18:19], v[36:37], v[10:11]
	v_fma_f64 v[10:11], v[248:249], v[232:233], -v[62:63]
	v_fmac_f64_e32 v[12:13], v[250:251], v[232:233]
	ds_write_b128 v23, v[56:59] offset:1088
	ds_write_b128 v23, v[208:211] offset:2176
	v_mul_f64 v[64:65], v[16:17], v[230:231]
	v_fmac_f64_e32 v[2:3], v[16:17], v[228:229]
	v_fma_f64 v[16:17], v[36:37], v[8:9], -v[24:25]
	v_fmac_f64_e32 v[18:19], v[38:39], v[8:9]
	ds_write_b128 v23, v[10:13] offset:4352
	ds_read_b128 v[8:11], v23 offset:6528
	v_fma_f64 v[216:217], v[252:253], v[0:1], -v[234:235]
	v_fmac_f64_e32 v[218:219], v[254:255], v[0:1]
	v_fma_f64 v[0:1], v[14:15], v[228:229], -v[64:65]
	ds_write_b128 v23, v[216:219] offset:5440
	ds_write_b128 v23, v[0:3]
	ds_write_b128 v23, v[16:19] offset:3264
	ds_read_b128 v[0:3], v23 offset:7616
	s_waitcnt vmcnt(10) lgkmcnt(4)
	v_mul_f64 v[12:13], v[10:11], v[214:215]
	v_mul_f64 v[14:15], v[8:9], v[214:215]
	v_fma_f64 v[12:13], v[8:9], v[212:213], -v[12:13]
	v_fmac_f64_e32 v[14:15], v[10:11], v[212:213]
	ds_write_b128 v23, v[12:15] offset:6528
	ds_read_b128 v[12:15], v23 offset:8704
	s_waitcnt vmcnt(9) lgkmcnt(2)
	v_mul_f64 v[8:9], v[2:3], v[222:223]
	v_mul_f64 v[10:11], v[0:1], v[222:223]
	v_fma_f64 v[8:9], v[0:1], v[220:221], -v[8:9]
	v_fmac_f64_e32 v[10:11], v[2:3], v[220:221]
	ds_read_b128 v[0:3], v23 offset:9792
	ds_write_b128 v23, v[8:11] offset:7616
	s_waitcnt vmcnt(8) lgkmcnt(2)
	v_mul_f64 v[8:9], v[14:15], v[226:227]
	v_mul_f64 v[10:11], v[12:13], v[226:227]
	v_fma_f64 v[8:9], v[12:13], v[224:225], -v[8:9]
	v_fmac_f64_e32 v[10:11], v[14:15], v[224:225]
	ds_read_b128 v[12:15], v23 offset:10880
	ds_write_b128 v23, v[8:11] offset:8704
	;; [unrolled: 7-line block ×3, first 2 shown]
	ds_read_b128 v[8:11], v23 offset:13056
	s_waitcnt vmcnt(6) lgkmcnt(4)
	v_mul_f64 v[4:5], v[14:15], v[238:239]
	v_mul_f64 v[6:7], v[12:13], v[238:239]
	v_fma_f64 v[4:5], v[12:13], v[236:237], -v[4:5]
	v_fmac_f64_e32 v[6:7], v[14:15], v[236:237]
	ds_write_b128 v23, v[4:7] offset:10880
	s_waitcnt vmcnt(5) lgkmcnt(3)
	v_mul_f64 v[4:5], v[2:3], v[242:243]
	v_mul_f64 v[6:7], v[0:1], v[242:243]
	v_fma_f64 v[4:5], v[0:1], v[240:241], -v[4:5]
	v_fmac_f64_e32 v[6:7], v[2:3], v[240:241]
	ds_read_b128 v[0:3], v23 offset:14144
	ds_write_b128 v23, v[4:7] offset:11968
	s_waitcnt vmcnt(4) lgkmcnt(3)
	v_mul_f64 v[4:5], v[10:11], v[246:247]
	v_mul_f64 v[6:7], v[8:9], v[246:247]
	v_fma_f64 v[4:5], v[8:9], v[244:245], -v[4:5]
	v_fmac_f64_e32 v[6:7], v[10:11], v[244:245]
	ds_read_b128 v[8:11], v23 offset:15232
	ds_write_b128 v23, v[4:7] offset:13056
	s_waitcnt vmcnt(3) lgkmcnt(3)
	v_mul_f64 v[4:5], v[2:3], v[42:43]
	v_mul_f64 v[6:7], v[0:1], v[42:43]
	v_fma_f64 v[4:5], v[0:1], v[40:41], -v[4:5]
	v_fmac_f64_e32 v[6:7], v[2:3], v[40:41]
	ds_write_b128 v23, v[4:7] offset:14144
	s_waitcnt vmcnt(2) lgkmcnt(2)
	v_mul_f64 v[4:5], v[10:11], v[46:47]
	v_mul_f64 v[6:7], v[8:9], v[46:47]
	ds_read_b128 v[0:3], v23 offset:16320
	v_fma_f64 v[4:5], v[8:9], v[44:45], -v[4:5]
	v_fmac_f64_e32 v[6:7], v[10:11], v[44:45]
	ds_write_b128 v23, v[4:7] offset:15232
	ds_read_b128 v[4:7], v23 offset:17408
	s_waitcnt vmcnt(1) lgkmcnt(2)
	v_mul_f64 v[8:9], v[2:3], v[50:51]
	v_mul_f64 v[10:11], v[0:1], v[50:51]
	v_fma_f64 v[8:9], v[0:1], v[48:49], -v[8:9]
	v_fmac_f64_e32 v[10:11], v[2:3], v[48:49]
	s_waitcnt vmcnt(0) lgkmcnt(0)
	v_mul_f64 v[0:1], v[6:7], v[54:55]
	v_mul_f64 v[2:3], v[4:5], v[54:55]
	v_fma_f64 v[0:1], v[4:5], v[52:53], -v[0:1]
	v_fmac_f64_e32 v[2:3], v[6:7], v[52:53]
	ds_write_b128 v23, v[8:11] offset:16320
	ds_write_b128 v23, v[0:3] offset:17408
	s_waitcnt lgkmcnt(0)
	s_barrier
	ds_read_b128 v[0:3], v23
	ds_read_b128 v[12:15], v23 offset:1088
	ds_read_b128 v[4:7], v23 offset:2176
	;; [unrolled: 1-line block ×16, first 2 shown]
	s_waitcnt lgkmcnt(14)
	v_add_f64 v[30:31], v[2:3], v[14:15]
	v_add_f64 v[28:29], v[0:1], v[12:13]
	;; [unrolled: 1-line block ×4, first 2 shown]
	s_waitcnt lgkmcnt(13)
	v_add_f64 v[30:31], v[30:31], v[254:255]
	v_add_f64 v[28:29], v[28:29], v[252:253]
	s_waitcnt lgkmcnt(12)
	v_add_f64 v[30:31], v[30:31], v[246:247]
	v_add_f64 v[28:29], v[28:29], v[244:245]
	;; [unrolled: 3-line block ×14, first 2 shown]
	v_add_f64 v[14:15], v[14:15], -v[26:27]
	v_add_f64 v[208:209], v[28:29], v[24:25]
	v_add_f64 v[28:29], v[12:13], v[24:25]
	v_add_f64 v[12:13], v[12:13], -v[24:25]
	v_mul_f64 v[24:25], v[14:15], s[28:29]
	v_mul_f64 v[40:41], v[14:15], s[20:21]
	;; [unrolled: 1-line block ×8, first 2 shown]
	v_fma_f64 v[26:27], s[30:31], v[28:29], v[24:25]
	v_fma_f64 v[24:25], v[28:29], s[30:31], -v[24:25]
	v_fma_f64 v[42:43], s[22:23], v[28:29], v[40:41]
	v_fma_f64 v[40:41], v[28:29], s[22:23], -v[40:41]
	;; [unrolled: 2-line block ×8, first 2 shown]
	v_add_f64 v[26:27], v[0:1], v[26:27]
	v_mul_f64 v[36:37], v[30:31], s[30:31]
	v_add_f64 v[24:25], v[0:1], v[24:25]
	v_add_f64 v[42:43], v[0:1], v[42:43]
	v_mul_f64 v[44:45], v[30:31], s[22:23]
	v_add_f64 v[40:41], v[0:1], v[40:41]
	;; [unrolled: 3-line block ×8, first 2 shown]
	v_add_f64 v[14:15], v[6:7], v[18:19]
	v_add_f64 v[6:7], v[6:7], -v[18:19]
	v_fma_f64 v[38:39], s[36:37], v[12:13], v[36:37]
	v_fmac_f64_e32 v[36:37], s[28:29], v[12:13]
	v_fma_f64 v[46:47], s[24:25], v[12:13], v[44:45]
	v_fmac_f64_e32 v[44:45], s[20:21], v[12:13]
	;; [unrolled: 2-line block ×8, first 2 shown]
	v_add_f64 v[12:13], v[4:5], v[16:17]
	v_add_f64 v[4:5], v[4:5], -v[16:17]
	v_mul_f64 v[16:17], v[6:7], s[20:21]
	v_fma_f64 v[18:19], s[22:23], v[12:13], v[16:17]
	v_add_f64 v[18:19], v[18:19], v[26:27]
	v_mul_f64 v[26:27], v[14:15], s[22:23]
	v_add_f64 v[36:37], v[2:3], v[36:37]
	v_fma_f64 v[28:29], s[24:25], v[4:5], v[26:27]
	v_fma_f64 v[16:17], v[12:13], s[22:23], -v[16:17]
	v_fmac_f64_e32 v[26:27], s[20:21], v[4:5]
	v_add_f64 v[16:17], v[16:17], v[24:25]
	v_add_f64 v[24:25], v[26:27], v[36:37]
	v_mul_f64 v[26:27], v[6:7], s[2:3]
	v_add_f64 v[38:39], v[2:3], v[38:39]
	v_add_f64 v[46:47], v[2:3], v[46:47]
	;; [unrolled: 1-line block ×15, first 2 shown]
	v_fma_f64 v[30:31], s[8:9], v[12:13], v[26:27]
	v_fma_f64 v[26:27], v[12:13], s[8:9], -v[26:27]
	v_add_f64 v[26:27], v[26:27], v[40:41]
	v_mul_f64 v[40:41], v[6:7], s[40:41]
	v_add_f64 v[30:31], v[30:31], v[42:43]
	v_fma_f64 v[42:43], s[42:43], v[12:13], v[40:41]
	v_fma_f64 v[40:41], v[12:13], s[42:43], -v[40:41]
	v_add_f64 v[40:41], v[40:41], v[48:49]
	v_mul_f64 v[48:49], v[6:7], s[52:53]
	v_add_f64 v[42:43], v[42:43], v[50:51]
	v_fma_f64 v[50:51], s[54:55], v[12:13], v[48:49]
	v_fma_f64 v[48:49], v[12:13], s[54:55], -v[48:49]
	v_add_f64 v[48:49], v[48:49], v[56:57]
	v_mul_f64 v[56:57], v[6:7], s[50:51]
	v_add_f64 v[50:51], v[50:51], v[58:59]
	v_fma_f64 v[58:59], s[48:49], v[12:13], v[56:57]
	v_fma_f64 v[56:57], v[12:13], s[48:49], -v[56:57]
	v_add_f64 v[56:57], v[56:57], v[64:65]
	v_mul_f64 v[64:65], v[6:7], s[38:39]
	v_add_f64 v[58:59], v[58:59], v[66:67]
	v_fma_f64 v[66:67], s[34:35], v[12:13], v[64:65]
	v_add_f64 v[66:67], v[66:67], v[68:69]
	v_mul_f64 v[68:69], v[14:15], s[34:35]
	v_mul_f64 v[36:37], v[14:15], s[8:9]
	v_fma_f64 v[86:87], s[26:27], v[4:5], v[68:69]
	v_fma_f64 v[64:65], v[12:13], s[34:35], -v[64:65]
	v_fmac_f64_e32 v[68:69], s[38:39], v[4:5]
	v_add_f64 v[28:29], v[28:29], v[38:39]
	v_fma_f64 v[38:39], s[10:11], v[4:5], v[36:37]
	v_fmac_f64_e32 v[36:37], s[2:3], v[4:5]
	v_add_f64 v[34:35], v[64:65], v[34:35]
	v_add_f64 v[64:65], v[68:69], v[70:71]
	v_mul_f64 v[68:69], v[6:7], s[18:19]
	v_add_f64 v[36:37], v[36:37], v[44:45]
	v_mul_f64 v[44:45], v[14:15], s[42:43]
	v_fma_f64 v[70:71], s[16:17], v[12:13], v[68:69]
	v_add_f64 v[38:39], v[38:39], v[46:47]
	v_fma_f64 v[46:47], s[44:45], v[4:5], v[44:45]
	v_fmac_f64_e32 v[44:45], s[40:41], v[4:5]
	v_add_f64 v[70:71], v[70:71], v[76:77]
	v_mul_f64 v[76:77], v[14:15], s[16:17]
	v_add_f64 v[44:45], v[44:45], v[52:53]
	v_mul_f64 v[52:53], v[14:15], s[54:55]
	v_add_f64 v[72:73], v[86:87], v[72:73]
	v_fma_f64 v[86:87], s[12:13], v[4:5], v[76:77]
	v_fma_f64 v[68:69], v[12:13], s[16:17], -v[68:69]
	v_fmac_f64_e32 v[76:77], s[18:19], v[4:5]
	v_mul_f64 v[6:7], v[6:7], s[36:37]
	v_add_f64 v[46:47], v[46:47], v[54:55]
	v_fma_f64 v[54:55], s[56:57], v[4:5], v[52:53]
	v_fmac_f64_e32 v[52:53], s[52:53], v[4:5]
	v_add_f64 v[68:69], v[68:69], v[74:75]
	v_add_f64 v[74:75], v[76:77], v[78:79]
	v_fma_f64 v[76:77], s[30:31], v[12:13], v[6:7]
	v_fma_f64 v[6:7], v[12:13], s[30:31], -v[6:7]
	v_add_f64 v[52:53], v[52:53], v[60:61]
	v_mul_f64 v[60:61], v[14:15], s[48:49]
	v_mul_f64 v[14:15], v[14:15], s[30:31]
	v_add_f64 v[0:1], v[6:7], v[0:1]
	v_add_f64 v[6:7], v[254:255], v[10:11]
	v_add_f64 v[10:11], v[254:255], -v[10:11]
	v_add_f64 v[54:55], v[54:55], v[62:63]
	v_fma_f64 v[62:63], s[46:47], v[4:5], v[60:61]
	v_fmac_f64_e32 v[60:61], s[50:51], v[4:5]
	v_fma_f64 v[78:79], s[28:29], v[4:5], v[14:15]
	v_fmac_f64_e32 v[14:15], s[36:37], v[4:5]
	v_add_f64 v[4:5], v[252:253], v[8:9]
	v_mul_f64 v[12:13], v[10:11], s[12:13]
	v_add_f64 v[2:3], v[14:15], v[2:3]
	v_fma_f64 v[14:15], s[16:17], v[4:5], v[12:13]
	v_add_f64 v[8:9], v[252:253], -v[8:9]
	v_add_f64 v[14:15], v[14:15], v[18:19]
	v_mul_f64 v[18:19], v[6:7], s[16:17]
	v_add_f64 v[76:77], v[76:77], v[82:83]
	v_fma_f64 v[82:83], s[18:19], v[8:9], v[18:19]
	v_fma_f64 v[12:13], v[4:5], s[16:17], -v[12:13]
	v_fmac_f64_e32 v[18:19], s[12:13], v[8:9]
	v_add_f64 v[12:13], v[12:13], v[16:17]
	v_add_f64 v[16:17], v[18:19], v[24:25]
	v_mul_f64 v[18:19], v[10:11], s[40:41]
	v_fma_f64 v[24:25], s[42:43], v[4:5], v[18:19]
	v_add_f64 v[24:25], v[24:25], v[30:31]
	v_mul_f64 v[30:31], v[6:7], s[42:43]
	v_add_f64 v[28:29], v[82:83], v[28:29]
	v_fma_f64 v[82:83], s[44:45], v[8:9], v[30:31]
	v_fma_f64 v[18:19], v[4:5], s[42:43], -v[18:19]
	v_fmac_f64_e32 v[30:31], s[40:41], v[8:9]
	v_add_f64 v[18:19], v[18:19], v[26:27]
	v_add_f64 v[26:27], v[30:31], v[36:37]
	v_mul_f64 v[30:31], v[10:11], s[56:57]
	v_fma_f64 v[36:37], s[54:55], v[4:5], v[30:31]
	;; [unrolled: 10-line block ×4, first 2 shown]
	v_add_f64 v[52:53], v[52:53], v[58:59]
	v_mul_f64 v[58:59], v[6:7], s[22:23]
	v_add_f64 v[60:61], v[60:61], v[200:201]
	v_add_f64 v[54:55], v[82:83], v[54:55]
	v_fma_f64 v[82:83], s[20:21], v[8:9], v[58:59]
	v_fma_f64 v[50:51], v[4:5], s[22:23], -v[50:51]
	v_fmac_f64_e32 v[58:59], s[24:25], v[8:9]
	v_add_f64 v[50:51], v[50:51], v[56:57]
	v_add_f64 v[56:57], v[58:59], v[60:61]
	v_mul_f64 v[58:59], v[10:11], s[28:29]
	v_fma_f64 v[60:61], s[30:31], v[4:5], v[58:59]
	v_add_f64 v[62:63], v[62:63], v[202:203]
	v_add_f64 v[60:61], v[60:61], v[66:67]
	v_mul_f64 v[66:67], v[6:7], s[30:31]
	v_add_f64 v[62:63], v[82:83], v[62:63]
	v_fma_f64 v[82:83], s[36:37], v[8:9], v[66:67]
	v_fma_f64 v[58:59], v[4:5], s[30:31], -v[58:59]
	v_fmac_f64_e32 v[66:67], s[28:29], v[8:9]
	v_add_f64 v[34:35], v[58:59], v[34:35]
	v_add_f64 v[58:59], v[66:67], v[64:65]
	v_mul_f64 v[64:65], v[10:11], s[2:3]
	v_fma_f64 v[66:67], s[8:9], v[4:5], v[64:65]
	v_add_f64 v[66:67], v[66:67], v[70:71]
	v_mul_f64 v[70:71], v[6:7], s[8:9]
	v_add_f64 v[72:73], v[82:83], v[72:73]
	v_fma_f64 v[82:83], s[10:11], v[8:9], v[70:71]
	v_fma_f64 v[64:65], v[4:5], s[8:9], -v[64:65]
	v_fmac_f64_e32 v[70:71], s[2:3], v[8:9]
	v_mul_f64 v[10:11], v[10:11], s[46:47]
	v_add_f64 v[64:65], v[64:65], v[68:69]
	v_add_f64 v[68:69], v[70:71], v[74:75]
	v_fma_f64 v[70:71], s[48:49], v[4:5], v[10:11]
	v_mul_f64 v[6:7], v[6:7], s[48:49]
	v_fma_f64 v[4:5], v[4:5], s[48:49], -v[10:11]
	v_add_f64 v[10:11], v[246:247], -v[250:251]
	v_add_f64 v[78:79], v[78:79], v[84:85]
	v_add_f64 v[70:71], v[70:71], v[76:77]
	v_fma_f64 v[74:75], s[50:51], v[8:9], v[6:7]
	v_add_f64 v[0:1], v[4:5], v[0:1]
	v_fmac_f64_e32 v[6:7], s[46:47], v[8:9]
	v_add_f64 v[4:5], v[244:245], v[248:249]
	v_mul_f64 v[76:77], v[10:11], s[2:3]
	v_add_f64 v[74:75], v[74:75], v[78:79]
	v_add_f64 v[2:3], v[6:7], v[2:3]
	;; [unrolled: 1-line block ×3, first 2 shown]
	v_fma_f64 v[78:79], s[8:9], v[4:5], v[76:77]
	v_add_f64 v[80:81], v[86:87], v[80:81]
	v_add_f64 v[8:9], v[244:245], -v[248:249]
	v_add_f64 v[14:15], v[78:79], v[14:15]
	v_mul_f64 v[78:79], v[6:7], s[8:9]
	v_fma_f64 v[76:77], v[4:5], s[8:9], -v[76:77]
	v_add_f64 v[80:81], v[82:83], v[80:81]
	v_fma_f64 v[82:83], s[10:11], v[8:9], v[78:79]
	v_add_f64 v[12:13], v[76:77], v[12:13]
	v_fmac_f64_e32 v[78:79], s[2:3], v[8:9]
	v_mul_f64 v[76:77], v[10:11], s[52:53]
	v_add_f64 v[16:17], v[78:79], v[16:17]
	v_fma_f64 v[78:79], s[54:55], v[4:5], v[76:77]
	v_add_f64 v[24:25], v[78:79], v[24:25]
	v_mul_f64 v[78:79], v[6:7], s[54:55]
	v_fma_f64 v[76:77], v[4:5], s[54:55], -v[76:77]
	v_add_f64 v[28:29], v[82:83], v[28:29]
	v_fma_f64 v[82:83], s[56:57], v[8:9], v[78:79]
	v_add_f64 v[18:19], v[76:77], v[18:19]
	v_fmac_f64_e32 v[78:79], s[52:53], v[8:9]
	v_mul_f64 v[76:77], v[10:11], s[38:39]
	v_add_f64 v[26:27], v[78:79], v[26:27]
	v_fma_f64 v[78:79], s[34:35], v[4:5], v[76:77]
	;; [unrolled: 10-line block ×6, first 2 shown]
	v_fma_f64 v[76:77], v[4:5], s[42:43], -v[76:77]
	v_mul_f64 v[10:11], v[10:11], s[24:25]
	v_add_f64 v[66:67], v[78:79], v[66:67]
	v_mul_f64 v[78:79], v[6:7], s[42:43]
	v_add_f64 v[64:65], v[76:77], v[64:65]
	v_fma_f64 v[76:77], s[22:23], v[4:5], v[10:11]
	v_mul_f64 v[6:7], v[6:7], s[22:23]
	v_add_f64 v[70:71], v[76:77], v[70:71]
	v_fma_f64 v[76:77], s[20:21], v[8:9], v[6:7]
	v_fma_f64 v[4:5], v[4:5], s[22:23], -v[10:11]
	v_add_f64 v[10:11], v[238:239], -v[242:243]
	v_add_f64 v[72:73], v[82:83], v[72:73]
	v_fma_f64 v[82:83], s[40:41], v[8:9], v[78:79]
	v_fmac_f64_e32 v[78:79], s[44:45], v[8:9]
	v_add_f64 v[74:75], v[76:77], v[74:75]
	v_add_f64 v[0:1], v[4:5], v[0:1]
	v_fmac_f64_e32 v[6:7], s[24:25], v[8:9]
	v_add_f64 v[4:5], v[236:237], v[240:241]
	v_mul_f64 v[76:77], v[10:11], s[26:27]
	v_add_f64 v[68:69], v[78:79], v[68:69]
	v_add_f64 v[2:3], v[6:7], v[2:3]
	;; [unrolled: 1-line block ×3, first 2 shown]
	v_fma_f64 v[78:79], s[34:35], v[4:5], v[76:77]
	v_add_f64 v[8:9], v[236:237], -v[240:241]
	v_add_f64 v[14:15], v[78:79], v[14:15]
	v_mul_f64 v[78:79], v[6:7], s[34:35]
	v_fma_f64 v[76:77], v[4:5], s[34:35], -v[76:77]
	v_add_f64 v[80:81], v[82:83], v[80:81]
	v_fma_f64 v[82:83], s[38:39], v[8:9], v[78:79]
	v_add_f64 v[12:13], v[76:77], v[12:13]
	v_fmac_f64_e32 v[78:79], s[26:27], v[8:9]
	v_mul_f64 v[76:77], v[10:11], s[50:51]
	v_add_f64 v[16:17], v[78:79], v[16:17]
	v_fma_f64 v[78:79], s[48:49], v[4:5], v[76:77]
	v_add_f64 v[24:25], v[78:79], v[24:25]
	v_mul_f64 v[78:79], v[6:7], s[48:49]
	v_fma_f64 v[76:77], v[4:5], s[48:49], -v[76:77]
	v_add_f64 v[28:29], v[82:83], v[28:29]
	v_fma_f64 v[82:83], s[46:47], v[8:9], v[78:79]
	v_add_f64 v[18:19], v[76:77], v[18:19]
	v_fmac_f64_e32 v[78:79], s[50:51], v[8:9]
	v_mul_f64 v[76:77], v[10:11], s[24:25]
	v_add_f64 v[26:27], v[78:79], v[26:27]
	v_fma_f64 v[78:79], s[22:23], v[4:5], v[76:77]
	;; [unrolled: 10-line block ×6, first 2 shown]
	v_fma_f64 v[76:77], v[4:5], s[30:31], -v[76:77]
	v_mul_f64 v[10:11], v[10:11], s[40:41]
	v_add_f64 v[66:67], v[78:79], v[66:67]
	v_mul_f64 v[78:79], v[6:7], s[30:31]
	v_add_f64 v[64:65], v[76:77], v[64:65]
	v_fma_f64 v[76:77], s[42:43], v[4:5], v[10:11]
	v_mul_f64 v[6:7], v[6:7], s[42:43]
	v_add_f64 v[70:71], v[76:77], v[70:71]
	v_fma_f64 v[76:77], s[44:45], v[8:9], v[6:7]
	v_fma_f64 v[4:5], v[4:5], s[42:43], -v[10:11]
	v_add_f64 v[10:11], v[230:231], -v[234:235]
	v_add_f64 v[72:73], v[82:83], v[72:73]
	v_fma_f64 v[82:83], s[36:37], v[8:9], v[78:79]
	v_fmac_f64_e32 v[78:79], s[28:29], v[8:9]
	v_add_f64 v[74:75], v[76:77], v[74:75]
	v_add_f64 v[0:1], v[4:5], v[0:1]
	v_fmac_f64_e32 v[6:7], s[40:41], v[8:9]
	v_add_f64 v[4:5], v[228:229], v[232:233]
	v_mul_f64 v[76:77], v[10:11], s[40:41]
	v_add_f64 v[68:69], v[78:79], v[68:69]
	v_add_f64 v[2:3], v[6:7], v[2:3]
	v_add_f64 v[6:7], v[230:231], v[234:235]
	v_fma_f64 v[78:79], s[42:43], v[4:5], v[76:77]
	v_add_f64 v[8:9], v[228:229], -v[232:233]
	v_add_f64 v[14:15], v[78:79], v[14:15]
	v_mul_f64 v[78:79], v[6:7], s[42:43]
	v_fma_f64 v[76:77], v[4:5], s[42:43], -v[76:77]
	v_add_f64 v[80:81], v[82:83], v[80:81]
	v_fma_f64 v[82:83], s[44:45], v[8:9], v[78:79]
	v_add_f64 v[12:13], v[76:77], v[12:13]
	v_fmac_f64_e32 v[78:79], s[40:41], v[8:9]
	v_mul_f64 v[76:77], v[10:11], s[38:39]
	v_add_f64 v[16:17], v[78:79], v[16:17]
	v_fma_f64 v[78:79], s[34:35], v[4:5], v[76:77]
	v_add_f64 v[24:25], v[78:79], v[24:25]
	v_mul_f64 v[78:79], v[6:7], s[34:35]
	v_fma_f64 v[76:77], v[4:5], s[34:35], -v[76:77]
	v_add_f64 v[28:29], v[82:83], v[28:29]
	v_fma_f64 v[82:83], s[26:27], v[8:9], v[78:79]
	v_add_f64 v[18:19], v[76:77], v[18:19]
	v_fmac_f64_e32 v[78:79], s[38:39], v[8:9]
	v_mul_f64 v[76:77], v[10:11], s[28:29]
	v_add_f64 v[26:27], v[78:79], v[26:27]
	v_fma_f64 v[78:79], s[30:31], v[4:5], v[76:77]
	;; [unrolled: 10-line block ×6, first 2 shown]
	v_fma_f64 v[76:77], v[4:5], s[54:55], -v[76:77]
	v_mul_f64 v[10:11], v[10:11], s[18:19]
	v_add_f64 v[66:67], v[78:79], v[66:67]
	v_mul_f64 v[78:79], v[6:7], s[54:55]
	v_add_f64 v[64:65], v[76:77], v[64:65]
	v_fma_f64 v[76:77], s[16:17], v[4:5], v[10:11]
	v_mul_f64 v[6:7], v[6:7], s[16:17]
	v_add_f64 v[70:71], v[76:77], v[70:71]
	v_fma_f64 v[76:77], s[12:13], v[8:9], v[6:7]
	v_fma_f64 v[4:5], v[4:5], s[16:17], -v[10:11]
	v_add_f64 v[10:11], v[222:223], -v[226:227]
	v_add_f64 v[72:73], v[82:83], v[72:73]
	v_fma_f64 v[82:83], s[56:57], v[8:9], v[78:79]
	v_fmac_f64_e32 v[78:79], s[52:53], v[8:9]
	v_add_f64 v[74:75], v[76:77], v[74:75]
	v_add_f64 v[0:1], v[4:5], v[0:1]
	v_fmac_f64_e32 v[6:7], s[18:19], v[8:9]
	v_add_f64 v[4:5], v[220:221], v[224:225]
	v_mul_f64 v[76:77], v[10:11], s[46:47]
	v_add_f64 v[68:69], v[78:79], v[68:69]
	v_add_f64 v[2:3], v[6:7], v[2:3]
	;; [unrolled: 1-line block ×3, first 2 shown]
	v_fma_f64 v[78:79], s[48:49], v[4:5], v[76:77]
	v_add_f64 v[8:9], v[220:221], -v[224:225]
	v_add_f64 v[14:15], v[78:79], v[14:15]
	v_mul_f64 v[78:79], v[6:7], s[48:49]
	v_fma_f64 v[76:77], v[4:5], s[48:49], -v[76:77]
	v_add_f64 v[80:81], v[82:83], v[80:81]
	v_fma_f64 v[82:83], s[50:51], v[8:9], v[78:79]
	v_add_f64 v[12:13], v[76:77], v[12:13]
	v_fmac_f64_e32 v[78:79], s[46:47], v[8:9]
	v_mul_f64 v[76:77], v[10:11], s[18:19]
	v_add_f64 v[16:17], v[78:79], v[16:17]
	v_fma_f64 v[78:79], s[16:17], v[4:5], v[76:77]
	v_add_f64 v[24:25], v[78:79], v[24:25]
	v_mul_f64 v[78:79], v[6:7], s[16:17]
	v_fma_f64 v[76:77], v[4:5], s[16:17], -v[76:77]
	v_add_f64 v[28:29], v[82:83], v[28:29]
	v_fma_f64 v[82:83], s[12:13], v[8:9], v[78:79]
	v_add_f64 v[18:19], v[76:77], v[18:19]
	v_fmac_f64_e32 v[78:79], s[18:19], v[8:9]
	v_mul_f64 v[76:77], v[10:11], s[2:3]
	v_add_f64 v[26:27], v[78:79], v[26:27]
	v_fma_f64 v[78:79], s[8:9], v[4:5], v[76:77]
	;; [unrolled: 10-line block ×6, first 2 shown]
	v_fma_f64 v[76:77], v[4:5], s[22:23], -v[76:77]
	v_mul_f64 v[10:11], v[10:11], s[26:27]
	v_add_f64 v[66:67], v[78:79], v[66:67]
	v_mul_f64 v[78:79], v[6:7], s[22:23]
	v_add_f64 v[64:65], v[76:77], v[64:65]
	v_fma_f64 v[76:77], s[34:35], v[4:5], v[10:11]
	v_mul_f64 v[6:7], v[6:7], s[34:35]
	v_add_f64 v[72:73], v[82:83], v[72:73]
	v_fma_f64 v[82:83], s[20:21], v[8:9], v[78:79]
	v_fmac_f64_e32 v[78:79], s[24:25], v[8:9]
	v_add_f64 v[70:71], v[76:77], v[70:71]
	v_fma_f64 v[76:77], s[38:39], v[8:9], v[6:7]
	v_fmac_f64_e32 v[6:7], s[26:27], v[8:9]
	v_add_f64 v[84:85], v[214:215], v[218:219]
	v_add_f64 v[68:69], v[78:79], v[68:69]
	v_fma_f64 v[4:5], v[4:5], s[34:35], -v[10:11]
	v_add_f64 v[78:79], v[6:7], v[2:3]
	v_add_f64 v[86:87], v[212:213], -v[216:217]
	v_add_f64 v[200:201], v[214:215], -v[218:219]
	v_mul_f64 v[6:7], v[84:85], s[54:55]
	v_add_f64 v[80:81], v[82:83], v[80:81]
	v_add_f64 v[74:75], v[76:77], v[74:75]
	;; [unrolled: 1-line block ×4, first 2 shown]
	v_mul_f64 v[4:5], v[200:201], s[52:53]
	v_fma_f64 v[2:3], s[56:57], v[86:87], v[6:7]
	v_fmac_f64_e32 v[6:7], s[52:53], v[86:87]
	v_fma_f64 v[0:1], s[54:55], v[82:83], v[4:5]
	v_fma_f64 v[4:5], v[82:83], s[54:55], -v[4:5]
	v_add_f64 v[214:215], v[6:7], v[16:17]
	v_mul_f64 v[16:17], v[200:201], s[46:47]
	v_add_f64 v[212:213], v[4:5], v[12:13]
	v_mul_f64 v[8:9], v[200:201], s[36:37]
	v_mul_f64 v[10:11], v[84:85], s[30:31]
	v_fma_f64 v[12:13], s[48:49], v[82:83], v[16:17]
	v_fma_f64 v[16:17], v[82:83], s[48:49], -v[16:17]
	v_fma_f64 v[4:5], s[30:31], v[82:83], v[8:9]
	v_fma_f64 v[6:7], s[28:29], v[86:87], v[10:11]
	v_fma_f64 v[8:9], v[82:83], s[30:31], -v[8:9]
	v_fmac_f64_e32 v[10:11], s[36:37], v[86:87]
	v_add_f64 v[16:17], v[16:17], v[30:31]
	v_mul_f64 v[30:31], v[84:85], s[22:23]
	v_add_f64 v[2:3], v[2:3], v[28:29]
	v_add_f64 v[8:9], v[8:9], v[18:19]
	;; [unrolled: 1-line block ×3, first 2 shown]
	v_mul_f64 v[18:19], v[84:85], s[48:49]
	v_mul_f64 v[28:29], v[200:201], s[24:25]
	v_fma_f64 v[26:27], s[20:21], v[86:87], v[30:31]
	v_fmac_f64_e32 v[30:31], s[24:25], v[86:87]
	v_add_f64 v[0:1], v[0:1], v[14:15]
	v_add_f64 v[4:5], v[4:5], v[24:25]
	v_fma_f64 v[14:15], s[50:51], v[86:87], v[18:19]
	v_fmac_f64_e32 v[18:19], s[46:47], v[86:87]
	v_fma_f64 v[24:25], s[22:23], v[82:83], v[28:29]
	v_add_f64 v[30:31], v[30:31], v[48:49]
	v_mul_f64 v[48:49], v[200:201], s[18:19]
	v_add_f64 v[18:19], v[18:19], v[40:41]
	v_add_f64 v[24:25], v[24:25], v[44:45]
	v_fma_f64 v[28:29], v[82:83], s[22:23], -v[28:29]
	v_mul_f64 v[40:41], v[200:201], s[40:41]
	v_fma_f64 v[44:45], s[16:17], v[82:83], v[48:49]
	v_fma_f64 v[48:49], v[82:83], s[16:17], -v[48:49]
	v_add_f64 v[12:13], v[12:13], v[36:37]
	v_add_f64 v[28:29], v[28:29], v[42:43]
	v_fma_f64 v[36:37], s[42:43], v[82:83], v[40:41]
	v_mul_f64 v[42:43], v[84:85], s[42:43]
	v_add_f64 v[48:49], v[48:49], v[34:35]
	v_mul_f64 v[34:35], v[200:201], s[26:27]
	v_add_f64 v[6:7], v[6:7], v[38:39]
	v_add_f64 v[36:37], v[36:37], v[52:53]
	v_fma_f64 v[38:39], s[44:45], v[86:87], v[42:43]
	v_fmac_f64_e32 v[42:43], s[40:41], v[86:87]
	v_fma_f64 v[52:53], s[34:35], v[82:83], v[34:35]
	v_fma_f64 v[34:35], v[82:83], s[34:35], -v[34:35]
	v_fma_f64 v[40:41], v[82:83], s[42:43], -v[40:41]
	v_add_f64 v[42:43], v[42:43], v[56:57]
	v_add_f64 v[56:57], v[34:35], v[64:65]
	v_mul_f64 v[34:35], v[200:201], s[10:11]
	v_add_f64 v[40:41], v[40:41], v[50:51]
	v_add_f64 v[44:45], v[44:45], v[60:61]
	v_mul_f64 v[50:51], v[84:85], s[16:17]
	v_fma_f64 v[60:61], s[8:9], v[82:83], v[34:35]
	v_add_f64 v[14:15], v[14:15], v[46:47]
	v_fma_f64 v[46:47], s[12:13], v[86:87], v[50:51]
	v_fmac_f64_e32 v[50:51], s[18:19], v[86:87]
	v_add_f64 v[216:217], v[60:61], v[70:71]
	v_mul_f64 v[60:61], v[84:85], s[8:9]
	v_add_f64 v[38:39], v[38:39], v[62:63]
	v_add_f64 v[50:51], v[50:51], v[58:59]
	v_mul_f64 v[58:59], v[84:85], s[34:35]
	v_fma_f64 v[62:63], s[2:3], v[86:87], v[60:61]
	v_fma_f64 v[34:35], v[82:83], s[8:9], -v[34:35]
	v_fmac_f64_e32 v[60:61], s[10:11], v[86:87]
	v_add_f64 v[26:27], v[26:27], v[54:55]
	v_fma_f64 v[54:55], s[38:39], v[86:87], v[58:59]
	v_fmac_f64_e32 v[58:59], s[26:27], v[86:87]
	v_add_f64 v[218:219], v[62:63], v[74:75]
	v_add_f64 v[220:221], v[34:35], v[76:77]
	;; [unrolled: 1-line block ×7, first 2 shown]
	s_barrier
	ds_write_b128 v32, v[208:211]
	ds_write_b128 v32, v[0:3] offset:16
	ds_write_b128 v32, v[4:7] offset:32
	;; [unrolled: 1-line block ×16, first 2 shown]
	s_waitcnt lgkmcnt(0)
	s_barrier
	ds_read_b128 v[228:231], v23
	ds_read_b128 v[224:227], v23 offset:1088
	ds_read_b128 v[16:19], v23 offset:9248
	;; [unrolled: 1-line block ×15, first 2 shown]
	s_and_saveexec_b64 s[2:3], s[0:1]
	s_cbranch_execz .LBB0_11
; %bb.10:
	ds_read_b128 v[212:215], v23 offset:8704
	ds_read_b128 v[204:207], v23 offset:17952
.LBB0_11:
	s_or_b64 exec, exec, s[2:3]
	v_accvgpr_read_b32 v26, a74
	v_accvgpr_read_b32 v28, a76
	;; [unrolled: 1-line block ×4, first 2 shown]
	s_waitcnt lgkmcnt(13)
	v_mul_f64 v[24:25], v[28:29], v[18:19]
	v_fmac_f64_e32 v[24:25], v[26:27], v[16:17]
	v_mul_f64 v[16:17], v[28:29], v[16:17]
	v_accvgpr_read_b32 v28, a70
	v_accvgpr_read_b32 v30, a72
	;; [unrolled: 1-line block ×3, first 2 shown]
	v_fma_f64 v[16:17], v[26:27], v[18:19], -v[16:17]
	v_accvgpr_read_b32 v29, a71
	s_waitcnt lgkmcnt(12)
	v_mul_f64 v[26:27], v[30:31], v[14:15]
	v_accvgpr_read_b32 v36, a82
	v_fmac_f64_e32 v[26:27], v[28:29], v[12:13]
	v_mul_f64 v[12:13], v[30:31], v[12:13]
	v_accvgpr_read_b32 v38, a84
	v_accvgpr_read_b32 v39, a85
	;; [unrolled: 1-line block ×3, first 2 shown]
	v_fma_f64 v[28:29], v[28:29], v[14:15], -v[12:13]
	v_accvgpr_read_b32 v37, a83
	s_waitcnt lgkmcnt(9)
	v_mul_f64 v[12:13], v[38:39], v[252:253]
	v_accvgpr_read_b32 v42, a80
	v_accvgpr_read_b32 v43, a81
	v_mul_f64 v[34:35], v[38:39], v[254:255]
	v_fma_f64 v[38:39], v[36:37], v[254:255], -v[12:13]
	v_accvgpr_read_b32 v41, a79
	s_waitcnt lgkmcnt(8)
	v_mul_f64 v[44:45], v[42:43], v[250:251]
	v_mul_f64 v[12:13], v[42:43], v[248:249]
	v_fmac_f64_e32 v[44:45], v[40:41], v[248:249]
	v_fma_f64 v[46:47], v[40:41], v[250:251], -v[12:13]
	v_accvgpr_read_b32 v40, a86
	s_waitcnt lgkmcnt(5)
	v_mul_f64 v[12:13], v[90:91], v[244:245]
	v_accvgpr_read_b32 v42, a88
	v_accvgpr_read_b32 v43, a89
	v_fma_f64 v[54:55], v[88:89], v[246:247], -v[12:13]
	v_accvgpr_read_b32 v41, a87
	s_waitcnt lgkmcnt(4)
	v_mul_f64 v[12:13], v[42:43], v[240:241]
	v_fma_f64 v[62:63], v[40:41], v[242:243], -v[12:13]
	s_waitcnt lgkmcnt(1)
	v_mul_f64 v[12:13], v[98:99], v[236:237]
	v_fma_f64 v[66:67], v[96:97], v[238:239], -v[12:13]
	;; [unrolled: 3-line block ×3, first 2 shown]
	v_mul_f64 v[12:13], v[102:103], v[204:205]
	v_fma_f64 v[86:87], v[100:101], v[206:207], -v[12:13]
	v_add_f64 v[12:13], v[228:229], -v[24:25]
	v_add_f64 v[14:15], v[230:231], -v[16:17]
	v_fmac_f64_e32 v[34:35], v[36:37], v[252:253]
	v_fma_f64 v[16:17], v[228:229], 2.0, -v[12:13]
	v_fma_f64 v[18:19], v[230:231], 2.0, -v[14:15]
	v_add_f64 v[24:25], v[224:225], -v[26:27]
	v_add_f64 v[26:27], v[226:227], -v[28:29]
	v_accvgpr_read_b32 v32, a69
	v_mul_f64 v[52:53], v[90:91], v[246:247]
	v_mul_f64 v[60:61], v[42:43], v[242:243]
	v_fma_f64 v[28:29], v[224:225], 2.0, -v[24:25]
	v_fma_f64 v[30:31], v[226:227], 2.0, -v[26:27]
	v_add_f64 v[36:37], v[220:221], -v[34:35]
	v_add_f64 v[38:39], v[222:223], -v[38:39]
	s_barrier
	ds_write_b128 v32, v[16:19]
	ds_write_b128 v32, v[12:15] offset:272
	v_accvgpr_read_b32 v12, a90
	v_fmac_f64_e32 v[52:53], v[88:89], v[244:245]
	v_fmac_f64_e32 v[60:61], v[40:41], v[240:241]
	v_fma_f64 v[40:41], v[220:221], 2.0, -v[36:37]
	v_fma_f64 v[42:43], v[222:223], 2.0, -v[38:39]
	v_add_f64 v[44:45], v[216:217], -v[44:45]
	v_add_f64 v[46:47], v[218:219], -v[46:47]
	ds_write_b128 v12, v[28:31]
	ds_write_b128 v12, v[24:27] offset:272
	v_accvgpr_read_b32 v12, a91
	v_mul_f64 v[64:65], v[98:99], v[238:239]
	v_fma_f64 v[48:49], v[216:217], 2.0, -v[44:45]
	v_fma_f64 v[50:51], v[218:219], 2.0, -v[46:47]
	v_add_f64 v[52:53], v[208:209], -v[52:53]
	v_add_f64 v[54:55], v[210:211], -v[54:55]
	ds_write_b128 v12, v[40:43]
	ds_write_b128 v12, v[36:39] offset:272
	v_accvgpr_read_b32 v12, a92
	v_fmac_f64_e32 v[64:65], v[96:97], v[236:237]
	v_mul_f64 v[68:69], v[94:95], v[234:235]
	v_fma_f64 v[56:57], v[208:209], 2.0, -v[52:53]
	v_fma_f64 v[58:59], v[210:211], 2.0, -v[54:55]
	v_add_f64 v[72:73], v[8:9], -v[60:61]
	v_add_f64 v[74:75], v[10:11], -v[62:63]
	ds_write_b128 v12, v[48:51]
	ds_write_b128 v12, v[44:47] offset:272
	v_accvgpr_read_b32 v12, a93
	v_fmac_f64_e32 v[68:69], v[92:93], v[232:233]
	;; [unrolled: 9-line block ×3, first 2 shown]
	v_fma_f64 v[4:5], v[4:5], 2.0, -v[76:77]
	v_fma_f64 v[6:7], v[6:7], 2.0, -v[78:79]
	v_add_f64 v[80:81], v[0:1], -v[68:69]
	v_add_f64 v[82:83], v[2:3], -v[70:71]
	ds_write_b128 v12, v[8:11]
	ds_write_b128 v12, v[72:75] offset:272
	v_accvgpr_read_b32 v8, a96
	v_fma_f64 v[0:1], v[0:1], 2.0, -v[80:81]
	v_fma_f64 v[2:3], v[2:3], 2.0, -v[82:83]
	v_add_f64 v[68:69], v[212:213], -v[84:85]
	v_add_f64 v[70:71], v[214:215], -v[86:87]
	ds_write_b128 v8, v[4:7]
	ds_write_b128 v8, v[76:79] offset:272
	v_accvgpr_read_b32 v4, a97
	ds_write_b128 v4, v[0:3]
	ds_write_b128 v4, v[80:83] offset:272
	s_and_saveexec_b64 s[2:3], s[0:1]
	s_cbranch_execz .LBB0_13
; %bb.12:
	v_accvgpr_read_b32 v4, a68
	v_accvgpr_read_b32 v5, a94
	v_fma_f64 v[2:3], v[214:215], 2.0, -v[70:71]
	v_fma_f64 v[0:1], v[212:213], 2.0, -v[68:69]
	v_lshl_add_u32 v4, v5, 4, v4
	ds_write_b128 v4, v[0:3]
	ds_write_b128 v4, v[68:71] offset:272
.LBB0_13:
	s_or_b64 exec, exec, s[2:3]
	s_waitcnt lgkmcnt(0)
	s_barrier
	ds_read_b128 v[76:79], v23
	ds_read_b128 v[0:3], v23 offset:1088
	ds_read_b128 v[4:7], v23 offset:2176
	ds_read_b128 v[8:11], v23 offset:3264
	ds_read_b128 v[12:15], v23 offset:4352
	ds_read_b128 v[16:19], v23 offset:5440
	ds_read_b128 v[28:31], v23 offset:6528
	ds_read_b128 v[36:39], v23 offset:7616
	ds_read_b128 v[40:43], v23 offset:8704
	ds_read_b128 v[44:47], v23 offset:9792
	ds_read_b128 v[48:51], v23 offset:10880
	ds_read_b128 v[52:55], v23 offset:11968
	ds_read_b128 v[56:59], v23 offset:13056
	ds_read_b128 v[72:75], v23 offset:14144
	ds_read_b128 v[204:207], v23 offset:15232
	ds_read_b128 v[208:211], v23 offset:16320
	ds_read_b128 v[212:215], v23 offset:17408
	s_waitcnt lgkmcnt(14)
	v_mul_f64 v[34:35], v[118:119], v[2:3]
	v_fmac_f64_e32 v[34:35], v[116:117], v[0:1]
	v_mul_f64 v[0:1], v[118:119], v[0:1]
	v_fma_f64 v[60:61], v[116:117], v[2:3], -v[0:1]
	v_mul_f64 v[0:1], v[114:115], v[4:5]
	v_mul_f64 v[100:101], v[114:115], v[6:7]
	v_fma_f64 v[102:103], v[112:113], v[6:7], -v[0:1]
	s_waitcnt lgkmcnt(7)
	v_mul_f64 v[6:7], v[150:151], v[44:45]
	v_fmac_f64_e32 v[100:101], v[112:113], v[4:5]
	v_mul_f64 v[0:1], v[110:111], v[8:9]
	v_mul_f64 v[4:5], v[150:151], v[46:47]
	v_fma_f64 v[6:7], v[148:149], v[46:47], -v[6:7]
	v_add_f64 v[46:47], v[78:79], v[60:61]
	v_mul_f64 v[24:25], v[110:111], v[10:11]
	v_fma_f64 v[26:27], v[108:109], v[10:11], -v[0:1]
	v_mul_f64 v[0:1], v[106:107], v[12:13]
	v_fmac_f64_e32 v[4:5], v[148:149], v[44:45]
	v_add_f64 v[44:45], v[76:77], v[34:35]
	v_add_f64 v[46:47], v[46:47], v[102:103]
	v_fmac_f64_e32 v[24:25], v[108:109], v[8:9]
	v_mul_f64 v[92:93], v[106:107], v[14:15]
	v_fma_f64 v[94:95], v[104:105], v[14:15], -v[0:1]
	v_mul_f64 v[0:1], v[134:135], v[16:17]
	v_add_f64 v[44:45], v[44:45], v[100:101]
	v_add_f64 v[46:47], v[46:47], v[26:27]
	v_fmac_f64_e32 v[92:93], v[104:105], v[12:13]
	v_mul_f64 v[84:85], v[134:135], v[18:19]
	v_fma_f64 v[86:87], v[132:133], v[18:19], -v[0:1]
	v_mul_f64 v[0:1], v[130:131], v[28:29]
	;; [unrolled: 6-line block ×4, first 2 shown]
	v_add_f64 v[44:45], v[44:45], v[84:85]
	v_add_f64 v[46:47], v[46:47], v[18:19]
	v_fmac_f64_e32 v[8:9], v[124:125], v[36:37]
	v_mul_f64 v[0:1], v[122:123], v[42:43]
	v_fma_f64 v[2:3], v[120:121], v[42:43], -v[2:3]
	v_add_f64 v[44:45], v[44:45], v[16:17]
	v_add_f64 v[46:47], v[46:47], v[10:11]
	v_fmac_f64_e32 v[0:1], v[120:121], v[40:41]
	s_waitcnt lgkmcnt(6)
	v_mul_f64 v[14:15], v[146:147], v[48:49]
	v_add_f64 v[44:45], v[44:45], v[8:9]
	v_add_f64 v[46:47], v[46:47], v[2:3]
	v_mul_f64 v[12:13], v[146:147], v[50:51]
	v_fma_f64 v[14:15], v[144:145], v[50:51], -v[14:15]
	s_waitcnt lgkmcnt(5)
	v_mul_f64 v[28:29], v[142:143], v[52:53]
	v_add_f64 v[44:45], v[44:45], v[0:1]
	v_add_f64 v[46:47], v[46:47], v[6:7]
	v_fmac_f64_e32 v[12:13], v[144:145], v[48:49]
	v_mul_f64 v[80:81], v[142:143], v[54:55]
	v_fma_f64 v[82:83], v[140:141], v[54:55], -v[28:29]
	s_waitcnt lgkmcnt(4)
	v_mul_f64 v[28:29], v[138:139], v[56:57]
	v_add_f64 v[44:45], v[44:45], v[4:5]
	v_add_f64 v[46:47], v[46:47], v[14:15]
	v_fmac_f64_e32 v[80:81], v[140:141], v[52:53]
	;; [unrolled: 7-line block ×6, first 2 shown]
	v_mul_f64 v[40:41], v[154:155], v[214:215]
	v_fma_f64 v[42:43], v[152:153], v[214:215], -v[42:43]
	v_add_f64 v[44:45], v[44:45], v[28:29]
	v_add_f64 v[46:47], v[46:47], v[38:39]
	v_fmac_f64_e32 v[40:41], v[152:153], v[212:213]
	v_add_f64 v[44:45], v[44:45], v[36:37]
	v_add_f64 v[74:75], v[46:47], v[42:43]
	;; [unrolled: 1-line block ×3, first 2 shown]
	s_mov_b32 s2, 0xeb564b22
	v_add_f64 v[72:73], v[44:45], v[40:41]
	v_add_f64 v[44:45], v[34:35], v[40:41]
	v_add_f64 v[34:35], v[34:35], -v[40:41]
	v_add_f64 v[40:41], v[60:61], -v[42:43]
	v_mul_f64 v[50:51], v[46:47], s[30:31]
	v_mul_f64 v[58:59], v[46:47], s[22:23]
	;; [unrolled: 1-line block ×3, first 2 shown]
	s_mov_b32 s3, 0xbfefdd0d
	v_mul_f64 v[110:111], v[46:47], s[8:9]
	v_mul_f64 v[118:119], v[46:47], s[34:35]
	;; [unrolled: 1-line block ×5, first 2 shown]
	s_mov_b32 s56, s52
	v_mul_f64 v[42:43], v[40:41], s[28:29]
	s_mov_b32 s36, s28
	v_mul_f64 v[54:55], v[40:41], s[20:21]
	;; [unrolled: 2-line block ×8, first 2 shown]
	v_fma_f64 v[140:141], s[56:57], v[34:35], v[46:47]
	v_fmac_f64_e32 v[46:47], s[52:53], v[34:35]
	v_fma_f64 v[48:49], s[30:31], v[44:45], v[42:43]
	v_fma_f64 v[52:53], s[36:37], v[34:35], v[50:51]
	v_fma_f64 v[42:43], v[44:45], s[30:31], -v[42:43]
	v_fmac_f64_e32 v[50:51], s[28:29], v[34:35]
	v_fma_f64 v[56:57], s[22:23], v[44:45], v[54:55]
	v_fma_f64 v[60:61], s[24:25], v[34:35], v[58:59]
	v_fma_f64 v[54:55], v[44:45], s[22:23], -v[54:55]
	;; [unrolled: 4-line block ×7, first 2 shown]
	v_fmac_f64_e32 v[134:135], s[46:47], v[34:35]
	v_fma_f64 v[138:139], s[54:55], v[44:45], v[40:41]
	v_fma_f64 v[40:41], v[44:45], s[54:55], -v[40:41]
	v_add_f64 v[34:35], v[78:79], v[46:47]
	v_add_f64 v[46:47], v[102:103], v[38:39]
	v_add_f64 v[38:39], v[102:103], -v[38:39]
	v_add_f64 v[48:49], v[76:77], v[48:49]
	v_add_f64 v[42:43], v[76:77], v[42:43]
	;; [unrolled: 1-line block ×17, first 2 shown]
	v_mul_f64 v[76:77], v[38:39], s[20:21]
	v_add_f64 v[52:53], v[78:79], v[52:53]
	v_add_f64 v[50:51], v[78:79], v[50:51]
	;; [unrolled: 1-line block ×15, first 2 shown]
	v_fma_f64 v[78:79], s[22:23], v[44:45], v[76:77]
	v_add_f64 v[36:37], v[100:101], -v[36:37]
	v_add_f64 v[48:49], v[78:79], v[48:49]
	v_mul_f64 v[78:79], v[46:47], s[22:23]
	v_fma_f64 v[76:77], v[44:45], s[22:23], -v[76:77]
	v_fma_f64 v[100:101], s[24:25], v[36:37], v[78:79]
	v_add_f64 v[42:43], v[76:77], v[42:43]
	v_fmac_f64_e32 v[78:79], s[20:21], v[36:37]
	v_mul_f64 v[76:77], v[38:39], s[2:3]
	v_add_f64 v[50:51], v[78:79], v[50:51]
	v_fma_f64 v[78:79], s[8:9], v[44:45], v[76:77]
	v_add_f64 v[56:57], v[78:79], v[56:57]
	v_mul_f64 v[78:79], v[46:47], s[8:9]
	v_fma_f64 v[76:77], v[44:45], s[8:9], -v[76:77]
	v_add_f64 v[52:53], v[100:101], v[52:53]
	v_fma_f64 v[100:101], s[10:11], v[36:37], v[78:79]
	v_add_f64 v[54:55], v[76:77], v[54:55]
	v_fmac_f64_e32 v[78:79], s[2:3], v[36:37]
	v_mul_f64 v[76:77], v[38:39], s[40:41]
	v_add_f64 v[58:59], v[78:79], v[58:59]
	v_fma_f64 v[78:79], s[42:43], v[44:45], v[76:77]
	v_add_f64 v[64:65], v[78:79], v[64:65]
	v_mul_f64 v[78:79], v[46:47], s[42:43]
	v_fma_f64 v[76:77], v[44:45], s[42:43], -v[76:77]
	v_add_f64 v[60:61], v[100:101], v[60:61]
	v_fma_f64 v[100:101], s[44:45], v[36:37], v[78:79]
	v_add_f64 v[62:63], v[76:77], v[62:63]
	v_fmac_f64_e32 v[78:79], s[40:41], v[36:37]
	v_mul_f64 v[76:77], v[38:39], s[52:53]
	v_add_f64 v[66:67], v[78:79], v[66:67]
	v_fma_f64 v[78:79], s[54:55], v[44:45], v[76:77]
	v_fma_f64 v[76:77], v[44:45], s[54:55], -v[76:77]
	v_add_f64 v[76:77], v[76:77], v[106:107]
	v_mul_f64 v[106:107], v[38:39], s[50:51]
	v_add_f64 v[78:79], v[78:79], v[108:109]
	v_mul_f64 v[102:103], v[46:47], s[54:55]
	v_fma_f64 v[108:109], s[48:49], v[44:45], v[106:107]
	v_fma_f64 v[106:107], v[44:45], s[48:49], -v[106:107]
	v_add_f64 v[100:101], v[100:101], v[104:105]
	v_fma_f64 v[104:105], s[56:57], v[36:37], v[102:103]
	v_fmac_f64_e32 v[102:103], s[52:53], v[36:37]
	v_add_f64 v[106:107], v[106:107], v[114:115]
	v_mul_f64 v[114:115], v[38:39], s[38:39]
	v_add_f64 v[102:103], v[102:103], v[110:111]
	v_add_f64 v[108:109], v[108:109], v[116:117]
	v_mul_f64 v[110:111], v[46:47], s[48:49]
	v_fma_f64 v[116:117], s[34:35], v[44:45], v[114:115]
	v_fma_f64 v[114:115], v[44:45], s[34:35], -v[114:115]
	v_add_f64 v[104:105], v[104:105], v[112:113]
	v_fma_f64 v[112:113], s[46:47], v[36:37], v[110:111]
	v_fmac_f64_e32 v[110:111], s[50:51], v[36:37]
	v_add_f64 v[114:115], v[114:115], v[122:123]
	v_mul_f64 v[122:123], v[38:39], s[18:19]
	v_add_f64 v[110:111], v[110:111], v[118:119]
	v_add_f64 v[116:117], v[116:117], v[124:125]
	v_mul_f64 v[118:119], v[46:47], s[34:35]
	v_fma_f64 v[124:125], s[16:17], v[44:45], v[122:123]
	v_fma_f64 v[122:123], v[44:45], s[16:17], -v[122:123]
	v_mul_f64 v[38:39], v[38:39], s[36:37]
	v_add_f64 v[112:113], v[112:113], v[120:121]
	v_fma_f64 v[120:121], s[26:27], v[36:37], v[118:119]
	v_fmac_f64_e32 v[118:119], s[38:39], v[36:37]
	v_add_f64 v[122:123], v[122:123], v[130:131]
	v_fma_f64 v[130:131], s[30:31], v[44:45], v[38:39]
	v_fma_f64 v[38:39], v[44:45], s[30:31], -v[38:39]
	v_add_f64 v[118:119], v[118:119], v[126:127]
	v_mul_f64 v[126:127], v[46:47], s[16:17]
	v_mul_f64 v[46:47], v[46:47], s[30:31]
	v_add_f64 v[38:39], v[38:39], v[40:41]
	v_add_f64 v[40:41], v[26:27], v[30:31]
	v_add_f64 v[26:27], v[26:27], -v[30:31]
	v_add_f64 v[120:121], v[120:121], v[128:129]
	v_add_f64 v[124:125], v[124:125], v[132:133]
	v_fma_f64 v[128:129], s[12:13], v[36:37], v[126:127]
	v_fmac_f64_e32 v[126:127], s[18:19], v[36:37]
	v_fma_f64 v[132:133], s[28:29], v[36:37], v[46:47]
	v_fmac_f64_e32 v[46:47], s[36:37], v[36:37]
	v_add_f64 v[36:37], v[24:25], v[28:29]
	v_add_f64 v[24:25], v[24:25], -v[28:29]
	v_mul_f64 v[28:29], v[26:27], s[12:13]
	v_mul_f64 v[44:45], v[40:41], s[16:17]
	v_add_f64 v[34:35], v[46:47], v[34:35]
	v_fma_f64 v[30:31], s[16:17], v[36:37], v[28:29]
	v_fma_f64 v[46:47], s[18:19], v[24:25], v[44:45]
	v_fma_f64 v[28:29], v[36:37], s[16:17], -v[28:29]
	v_fmac_f64_e32 v[44:45], s[12:13], v[24:25]
	v_add_f64 v[28:29], v[28:29], v[42:43]
	v_add_f64 v[42:43], v[44:45], v[50:51]
	v_mul_f64 v[44:45], v[26:27], s[40:41]
	v_add_f64 v[30:31], v[30:31], v[48:49]
	v_fma_f64 v[48:49], s[42:43], v[36:37], v[44:45]
	v_mul_f64 v[50:51], v[40:41], s[42:43]
	v_fma_f64 v[44:45], v[36:37], s[42:43], -v[44:45]
	v_add_f64 v[46:47], v[46:47], v[52:53]
	v_fma_f64 v[52:53], s[44:45], v[24:25], v[50:51]
	v_add_f64 v[44:45], v[44:45], v[54:55]
	v_fmac_f64_e32 v[50:51], s[40:41], v[24:25]
	v_mul_f64 v[54:55], v[26:27], s[56:57]
	v_add_f64 v[48:49], v[48:49], v[56:57]
	v_add_f64 v[50:51], v[50:51], v[58:59]
	v_fma_f64 v[56:57], s[54:55], v[36:37], v[54:55]
	v_mul_f64 v[58:59], v[40:41], s[54:55]
	v_fma_f64 v[54:55], v[36:37], s[54:55], -v[54:55]
	v_add_f64 v[52:53], v[52:53], v[60:61]
	v_fma_f64 v[60:61], s[52:53], v[24:25], v[58:59]
	v_add_f64 v[54:55], v[54:55], v[62:63]
	v_fmac_f64_e32 v[58:59], s[56:57], v[24:25]
	v_mul_f64 v[62:63], v[26:27], s[38:39]
	v_add_f64 v[56:57], v[56:57], v[64:65]
	;; [unrolled: 10-line block ×5, first 2 shown]
	v_add_f64 v[110:111], v[110:111], v[118:119]
	v_fma_f64 v[116:117], s[8:9], v[36:37], v[114:115]
	v_mul_f64 v[118:119], v[40:41], s[8:9]
	v_mul_f64 v[40:41], v[40:41], s[48:49]
	v_add_f64 v[116:117], v[116:117], v[124:125]
	v_fma_f64 v[114:115], v[36:37], s[8:9], -v[114:115]
	v_mul_f64 v[26:27], v[26:27], s[46:47]
	v_fma_f64 v[124:125], s[50:51], v[24:25], v[40:41]
	v_fmac_f64_e32 v[40:41], s[46:47], v[24:25]
	v_add_f64 v[112:113], v[112:113], v[120:121]
	v_fma_f64 v[120:121], s[10:11], v[24:25], v[118:119]
	v_add_f64 v[114:115], v[114:115], v[122:123]
	v_fmac_f64_e32 v[118:119], s[2:3], v[24:25]
	v_fma_f64 v[122:123], s[48:49], v[36:37], v[26:27]
	v_fma_f64 v[26:27], v[36:37], s[48:49], -v[26:27]
	v_add_f64 v[24:25], v[40:41], v[34:35]
	v_add_f64 v[40:41], v[94:95], -v[98:99]
	v_add_f64 v[26:27], v[26:27], v[38:39]
	v_add_f64 v[34:35], v[92:93], v[96:97]
	v_add_f64 v[38:39], v[92:93], -v[96:97]
	v_mul_f64 v[92:93], v[40:41], s[2:3]
	v_add_f64 v[36:37], v[94:95], v[98:99]
	v_fma_f64 v[94:95], s[8:9], v[34:35], v[92:93]
	v_add_f64 v[30:31], v[94:95], v[30:31]
	v_mul_f64 v[94:95], v[36:37], s[8:9]
	v_fma_f64 v[92:93], v[34:35], s[8:9], -v[92:93]
	v_fma_f64 v[96:97], s[10:11], v[38:39], v[94:95]
	v_add_f64 v[28:29], v[92:93], v[28:29]
	v_fmac_f64_e32 v[94:95], s[2:3], v[38:39]
	v_mul_f64 v[92:93], v[40:41], s[52:53]
	v_add_f64 v[42:43], v[94:95], v[42:43]
	v_fma_f64 v[94:95], s[54:55], v[34:35], v[92:93]
	v_add_f64 v[48:49], v[94:95], v[48:49]
	v_mul_f64 v[94:95], v[36:37], s[54:55]
	v_fma_f64 v[92:93], v[34:35], s[54:55], -v[92:93]
	v_add_f64 v[46:47], v[96:97], v[46:47]
	v_fma_f64 v[96:97], s[56:57], v[38:39], v[94:95]
	v_add_f64 v[44:45], v[92:93], v[44:45]
	v_fmac_f64_e32 v[94:95], s[52:53], v[38:39]
	v_mul_f64 v[92:93], v[40:41], s[38:39]
	v_add_f64 v[50:51], v[94:95], v[50:51]
	v_fma_f64 v[94:95], s[34:35], v[34:35], v[92:93]
	v_add_f64 v[56:57], v[94:95], v[56:57]
	v_mul_f64 v[94:95], v[36:37], s[34:35]
	v_fma_f64 v[92:93], v[34:35], s[34:35], -v[92:93]
	v_add_f64 v[52:53], v[96:97], v[52:53]
	v_fma_f64 v[96:97], s[26:27], v[38:39], v[94:95]
	v_add_f64 v[54:55], v[92:93], v[54:55]
	v_fmac_f64_e32 v[94:95], s[38:39], v[38:39]
	v_mul_f64 v[92:93], v[40:41], s[36:37]
	v_add_f64 v[58:59], v[94:95], v[58:59]
	v_fma_f64 v[94:95], s[30:31], v[34:35], v[92:93]
	v_add_f64 v[64:65], v[94:95], v[64:65]
	v_mul_f64 v[94:95], v[36:37], s[30:31]
	v_add_f64 v[60:61], v[96:97], v[60:61]
	v_fma_f64 v[96:97], s[28:29], v[38:39], v[94:95]
	v_fma_f64 v[92:93], v[34:35], s[30:31], -v[92:93]
	v_add_f64 v[78:79], v[96:97], v[78:79]
	v_add_f64 v[62:63], v[92:93], v[62:63]
	v_fmac_f64_e32 v[94:95], s[36:37], v[38:39]
	v_mul_f64 v[92:93], v[40:41], s[12:13]
	v_mul_f64 v[96:97], v[36:37], s[16:17]
	v_add_f64 v[66:67], v[94:95], v[66:67]
	v_fma_f64 v[94:95], s[16:17], v[34:35], v[92:93]
	v_fma_f64 v[98:99], s[18:19], v[38:39], v[96:97]
	v_fma_f64 v[92:93], v[34:35], s[16:17], -v[92:93]
	v_fmac_f64_e32 v[96:97], s[12:13], v[38:39]
	v_add_f64 v[76:77], v[92:93], v[76:77]
	v_add_f64 v[92:93], v[96:97], v[102:103]
	v_mul_f64 v[96:97], v[40:41], s[46:47]
	v_add_f64 v[94:95], v[94:95], v[100:101]
	v_fma_f64 v[100:101], s[48:49], v[34:35], v[96:97]
	v_fma_f64 v[96:97], v[34:35], s[48:49], -v[96:97]
	v_mul_f64 v[102:103], v[36:37], s[48:49]
	v_add_f64 v[96:97], v[96:97], v[106:107]
	v_mul_f64 v[106:107], v[40:41], s[44:45]
	v_add_f64 v[98:99], v[98:99], v[104:105]
	v_add_f64 v[100:101], v[100:101], v[108:109]
	v_fma_f64 v[104:105], s[50:51], v[38:39], v[102:103]
	v_fmac_f64_e32 v[102:103], s[46:47], v[38:39]
	v_fma_f64 v[108:109], s[42:43], v[34:35], v[106:107]
	v_fma_f64 v[106:107], v[34:35], s[42:43], -v[106:107]
	v_mul_f64 v[40:41], v[40:41], s[24:25]
	v_add_f64 v[102:103], v[102:103], v[110:111]
	v_mul_f64 v[110:111], v[36:37], s[42:43]
	v_add_f64 v[106:107], v[106:107], v[114:115]
	v_fma_f64 v[114:115], s[22:23], v[34:35], v[40:41]
	v_mul_f64 v[36:37], v[36:37], s[22:23]
	v_fma_f64 v[34:35], v[34:35], s[22:23], -v[40:41]
	v_add_f64 v[40:41], v[86:87], -v[90:91]
	v_add_f64 v[104:105], v[104:105], v[112:113]
	v_add_f64 v[108:109], v[108:109], v[116:117]
	v_fma_f64 v[112:113], s[40:41], v[38:39], v[110:111]
	v_fmac_f64_e32 v[110:111], s[44:45], v[38:39]
	v_fma_f64 v[116:117], s[20:21], v[38:39], v[36:37]
	v_add_f64 v[26:27], v[34:35], v[26:27]
	v_fmac_f64_e32 v[36:37], s[24:25], v[38:39]
	v_add_f64 v[34:35], v[84:85], v[88:89]
	v_add_f64 v[38:39], v[84:85], -v[88:89]
	v_mul_f64 v[84:85], v[40:41], s[26:27]
	v_add_f64 v[24:25], v[36:37], v[24:25]
	v_add_f64 v[36:37], v[86:87], v[90:91]
	v_fma_f64 v[86:87], s[34:35], v[34:35], v[84:85]
	v_add_f64 v[30:31], v[86:87], v[30:31]
	v_mul_f64 v[86:87], v[36:37], s[34:35]
	v_fma_f64 v[84:85], v[34:35], s[34:35], -v[84:85]
	v_fma_f64 v[88:89], s[38:39], v[38:39], v[86:87]
	v_add_f64 v[28:29], v[84:85], v[28:29]
	v_fmac_f64_e32 v[86:87], s[26:27], v[38:39]
	v_mul_f64 v[84:85], v[40:41], s[50:51]
	v_add_f64 v[42:43], v[86:87], v[42:43]
	v_fma_f64 v[86:87], s[48:49], v[34:35], v[84:85]
	v_add_f64 v[48:49], v[86:87], v[48:49]
	v_mul_f64 v[86:87], v[36:37], s[48:49]
	v_fma_f64 v[84:85], v[34:35], s[48:49], -v[84:85]
	v_add_f64 v[46:47], v[88:89], v[46:47]
	v_fma_f64 v[88:89], s[46:47], v[38:39], v[86:87]
	v_add_f64 v[44:45], v[84:85], v[44:45]
	v_fmac_f64_e32 v[86:87], s[50:51], v[38:39]
	v_mul_f64 v[84:85], v[40:41], s[24:25]
	v_add_f64 v[50:51], v[86:87], v[50:51]
	v_fma_f64 v[86:87], s[22:23], v[34:35], v[84:85]
	v_add_f64 v[56:57], v[86:87], v[56:57]
	v_mul_f64 v[86:87], v[36:37], s[22:23]
	v_fma_f64 v[84:85], v[34:35], s[22:23], -v[84:85]
	v_add_f64 v[52:53], v[88:89], v[52:53]
	v_fma_f64 v[88:89], s[20:21], v[38:39], v[86:87]
	v_add_f64 v[54:55], v[84:85], v[54:55]
	v_fmac_f64_e32 v[86:87], s[24:25], v[38:39]
	v_mul_f64 v[84:85], v[40:41], s[12:13]
	v_add_f64 v[58:59], v[86:87], v[58:59]
	v_fma_f64 v[86:87], s[16:17], v[34:35], v[84:85]
	v_add_f64 v[64:65], v[86:87], v[64:65]
	v_mul_f64 v[86:87], v[36:37], s[16:17]
	v_add_f64 v[60:61], v[88:89], v[60:61]
	v_fma_f64 v[88:89], s[18:19], v[38:39], v[86:87]
	v_fma_f64 v[84:85], v[34:35], s[16:17], -v[84:85]
	v_add_f64 v[78:79], v[88:89], v[78:79]
	v_add_f64 v[62:63], v[84:85], v[62:63]
	v_fmac_f64_e32 v[86:87], s[12:13], v[38:39]
	v_mul_f64 v[84:85], v[40:41], s[52:53]
	v_mul_f64 v[88:89], v[36:37], s[54:55]
	v_add_f64 v[66:67], v[86:87], v[66:67]
	v_fma_f64 v[86:87], s[54:55], v[34:35], v[84:85]
	v_fma_f64 v[90:91], s[56:57], v[38:39], v[88:89]
	v_fma_f64 v[84:85], v[34:35], s[54:55], -v[84:85]
	v_fmac_f64_e32 v[88:89], s[52:53], v[38:39]
	v_add_f64 v[76:77], v[84:85], v[76:77]
	v_add_f64 v[84:85], v[88:89], v[92:93]
	v_mul_f64 v[88:89], v[40:41], s[10:11]
	v_add_f64 v[86:87], v[86:87], v[94:95]
	v_fma_f64 v[92:93], s[8:9], v[34:35], v[88:89]
	v_mul_f64 v[94:95], v[36:37], s[8:9]
	v_fma_f64 v[88:89], v[34:35], s[8:9], -v[88:89]
	v_add_f64 v[90:91], v[90:91], v[98:99]
	v_fma_f64 v[98:99], s[2:3], v[38:39], v[94:95]
	v_add_f64 v[88:89], v[88:89], v[96:97]
	v_fmac_f64_e32 v[94:95], s[10:11], v[38:39]
	v_mul_f64 v[96:97], v[40:41], s[28:29]
	v_add_f64 v[92:93], v[92:93], v[100:101]
	v_add_f64 v[94:95], v[94:95], v[102:103]
	v_fma_f64 v[100:101], s[30:31], v[34:35], v[96:97]
	v_mul_f64 v[102:103], v[36:37], s[30:31]
	v_mul_f64 v[36:37], v[36:37], s[42:43]
	v_add_f64 v[100:101], v[100:101], v[108:109]
	v_fma_f64 v[96:97], v[34:35], s[30:31], -v[96:97]
	v_mul_f64 v[40:41], v[40:41], s[40:41]
	v_fma_f64 v[108:109], s[44:45], v[38:39], v[36:37]
	v_fmac_f64_e32 v[36:37], s[40:41], v[38:39]
	v_add_f64 v[96:97], v[96:97], v[106:107]
	v_fma_f64 v[106:107], s[42:43], v[34:35], v[40:41]
	v_fma_f64 v[34:35], v[34:35], s[42:43], -v[40:41]
	v_add_f64 v[24:25], v[36:37], v[24:25]
	v_add_f64 v[36:37], v[18:19], v[82:83]
	v_add_f64 v[18:19], v[18:19], -v[82:83]
	v_add_f64 v[98:99], v[98:99], v[104:105]
	v_fma_f64 v[104:105], s[36:37], v[38:39], v[102:103]
	v_fmac_f64_e32 v[102:103], s[28:29], v[38:39]
	v_add_f64 v[26:27], v[34:35], v[26:27]
	v_add_f64 v[34:35], v[16:17], v[80:81]
	v_mul_f64 v[38:39], v[18:19], s[40:41]
	v_fma_f64 v[40:41], s[42:43], v[34:35], v[38:39]
	v_add_f64 v[16:17], v[16:17], -v[80:81]
	v_add_f64 v[30:31], v[40:41], v[30:31]
	v_mul_f64 v[40:41], v[36:37], s[42:43]
	v_fma_f64 v[80:81], s[44:45], v[16:17], v[40:41]
	v_fma_f64 v[38:39], v[34:35], s[42:43], -v[38:39]
	v_fmac_f64_e32 v[40:41], s[40:41], v[16:17]
	v_add_f64 v[28:29], v[38:39], v[28:29]
	v_add_f64 v[38:39], v[40:41], v[42:43]
	v_mul_f64 v[40:41], v[18:19], s[38:39]
	v_fma_f64 v[42:43], s[34:35], v[34:35], v[40:41]
	v_add_f64 v[42:43], v[42:43], v[48:49]
	v_mul_f64 v[48:49], v[36:37], s[34:35]
	v_add_f64 v[46:47], v[80:81], v[46:47]
	v_fma_f64 v[80:81], s[26:27], v[16:17], v[48:49]
	v_fma_f64 v[40:41], v[34:35], s[34:35], -v[40:41]
	v_fmac_f64_e32 v[48:49], s[38:39], v[16:17]
	v_add_f64 v[40:41], v[40:41], v[44:45]
	v_add_f64 v[44:45], v[48:49], v[50:51]
	v_mul_f64 v[48:49], v[18:19], s[28:29]
	v_fma_f64 v[50:51], s[30:31], v[34:35], v[48:49]
	v_add_f64 v[50:51], v[50:51], v[56:57]
	v_mul_f64 v[56:57], v[36:37], s[30:31]
	v_add_f64 v[52:53], v[80:81], v[52:53]
	;; [unrolled: 10-line block ×3, first 2 shown]
	v_fma_f64 v[80:81], s[50:51], v[16:17], v[64:65]
	v_fma_f64 v[56:57], v[34:35], s[48:49], -v[56:57]
	v_fmac_f64_e32 v[64:65], s[46:47], v[16:17]
	v_add_f64 v[78:79], v[80:81], v[78:79]
	v_add_f64 v[56:57], v[56:57], v[62:63]
	;; [unrolled: 1-line block ×3, first 2 shown]
	v_mul_f64 v[64:65], v[18:19], s[10:11]
	v_mul_f64 v[80:81], v[36:37], s[8:9]
	v_fma_f64 v[66:67], s[8:9], v[34:35], v[64:65]
	v_fma_f64 v[82:83], s[2:3], v[16:17], v[80:81]
	v_fma_f64 v[64:65], v[34:35], s[8:9], -v[64:65]
	v_fmac_f64_e32 v[80:81], s[10:11], v[16:17]
	v_add_f64 v[64:65], v[64:65], v[76:77]
	v_add_f64 v[76:77], v[80:81], v[84:85]
	v_mul_f64 v[80:81], v[18:19], s[20:21]
	v_fma_f64 v[84:85], s[22:23], v[34:35], v[80:81]
	v_fma_f64 v[80:81], v[34:35], s[22:23], -v[80:81]
	v_add_f64 v[66:67], v[66:67], v[86:87]
	v_mul_f64 v[86:87], v[36:37], s[22:23]
	v_add_f64 v[80:81], v[80:81], v[88:89]
	v_mul_f64 v[88:89], v[18:19], s[52:53]
	v_add_f64 v[82:83], v[82:83], v[90:91]
	v_add_f64 v[84:85], v[84:85], v[92:93]
	v_fma_f64 v[90:91], s[24:25], v[16:17], v[86:87]
	v_fmac_f64_e32 v[86:87], s[20:21], v[16:17]
	v_fma_f64 v[92:93], s[54:55], v[34:35], v[88:89]
	v_fma_f64 v[88:89], v[34:35], s[54:55], -v[88:89]
	v_mul_f64 v[18:19], v[18:19], s[18:19]
	v_add_f64 v[86:87], v[86:87], v[94:95]
	v_mul_f64 v[94:95], v[36:37], s[54:55]
	v_add_f64 v[88:89], v[88:89], v[96:97]
	v_fma_f64 v[96:97], s[16:17], v[34:35], v[18:19]
	v_mul_f64 v[36:37], v[36:37], s[16:17]
	v_fma_f64 v[18:19], v[34:35], s[16:17], -v[18:19]
	v_add_f64 v[92:93], v[92:93], v[100:101]
	v_fma_f64 v[100:101], s[12:13], v[16:17], v[36:37]
	v_add_f64 v[18:19], v[18:19], v[26:27]
	v_fmac_f64_e32 v[36:37], s[18:19], v[16:17]
	v_add_f64 v[26:27], v[10:11], v[14:15]
	v_add_f64 v[10:11], v[10:11], -v[14:15]
	v_add_f64 v[90:91], v[90:91], v[98:99]
	v_fma_f64 v[98:99], s[56:57], v[16:17], v[94:95]
	v_fmac_f64_e32 v[94:95], s[52:53], v[16:17]
	v_add_f64 v[16:17], v[36:37], v[24:25]
	v_add_f64 v[24:25], v[8:9], v[12:13]
	v_add_f64 v[8:9], v[8:9], -v[12:13]
	v_mul_f64 v[12:13], v[10:11], s[46:47]
	v_fma_f64 v[14:15], s[48:49], v[24:25], v[12:13]
	v_add_f64 v[14:15], v[14:15], v[30:31]
	v_mul_f64 v[30:31], v[26:27], s[48:49]
	v_fma_f64 v[34:35], s[50:51], v[8:9], v[30:31]
	v_fma_f64 v[12:13], v[24:25], s[48:49], -v[12:13]
	v_fmac_f64_e32 v[30:31], s[46:47], v[8:9]
	v_add_f64 v[12:13], v[12:13], v[28:29]
	v_add_f64 v[28:29], v[30:31], v[38:39]
	v_mul_f64 v[30:31], v[10:11], s[18:19]
	v_fma_f64 v[36:37], s[16:17], v[24:25], v[30:31]
	v_mul_f64 v[38:39], v[26:27], s[16:17]
	v_fma_f64 v[30:31], v[24:25], s[16:17], -v[30:31]
	v_add_f64 v[36:37], v[36:37], v[42:43]
	v_fma_f64 v[42:43], s[12:13], v[8:9], v[38:39]
	v_add_f64 v[30:31], v[30:31], v[40:41]
	v_fmac_f64_e32 v[38:39], s[18:19], v[8:9]
	v_mul_f64 v[40:41], v[10:11], s[2:3]
	v_add_f64 v[34:35], v[34:35], v[46:47]
	v_add_f64 v[38:39], v[38:39], v[44:45]
	v_fma_f64 v[44:45], s[8:9], v[24:25], v[40:41]
	v_mul_f64 v[46:47], v[26:27], s[8:9]
	v_fma_f64 v[40:41], v[24:25], s[8:9], -v[40:41]
	v_add_f64 v[44:45], v[44:45], v[50:51]
	v_fma_f64 v[50:51], s[10:11], v[8:9], v[46:47]
	v_add_f64 v[40:41], v[40:41], v[48:49]
	v_fmac_f64_e32 v[46:47], s[2:3], v[8:9]
	v_mul_f64 v[48:49], v[10:11], s[44:45]
	v_add_f64 v[42:43], v[42:43], v[52:53]
	v_add_f64 v[46:47], v[46:47], v[54:55]
	;; [unrolled: 10-line block ×3, first 2 shown]
	v_fma_f64 v[60:61], s[30:31], v[24:25], v[56:57]
	v_mul_f64 v[62:63], v[26:27], s[30:31]
	v_fma_f64 v[56:57], v[24:25], s[30:31], -v[56:57]
	v_add_f64 v[60:61], v[60:61], v[66:67]
	v_fma_f64 v[66:67], s[36:37], v[8:9], v[62:63]
	v_add_f64 v[56:57], v[56:57], v[64:65]
	v_fmac_f64_e32 v[62:63], s[28:29], v[8:9]
	v_mul_f64 v[64:65], v[10:11], s[52:53]
	v_add_f64 v[62:63], v[62:63], v[76:77]
	v_fma_f64 v[76:77], s[54:55], v[24:25], v[64:65]
	v_add_f64 v[128:129], v[128:129], v[136:137]
	v_add_f64 v[132:133], v[132:133], v[140:141]
	;; [unrolled: 1-line block ×4, first 2 shown]
	v_mul_f64 v[76:77], v[26:27], s[54:55]
	v_add_f64 v[126:127], v[126:127], v[134:135]
	v_add_f64 v[130:131], v[130:131], v[138:139]
	;; [unrolled: 1-line block ×5, first 2 shown]
	v_fma_f64 v[78:79], s[56:57], v[8:9], v[76:77]
	v_fma_f64 v[64:65], v[24:25], s[54:55], -v[64:65]
	v_fmac_f64_e32 v[76:77], s[52:53], v[8:9]
	v_add_f64 v[118:119], v[118:119], v[126:127]
	v_add_f64 v[122:123], v[122:123], v[130:131]
	;; [unrolled: 1-line block ×6, first 2 shown]
	v_mul_f64 v[76:77], v[10:11], s[24:25]
	v_add_f64 v[110:111], v[110:111], v[118:119]
	v_add_f64 v[114:115], v[114:115], v[122:123]
	;; [unrolled: 1-line block ×5, first 2 shown]
	v_fma_f64 v[78:79], s[22:23], v[24:25], v[76:77]
	v_add_f64 v[102:103], v[102:103], v[110:111]
	v_add_f64 v[106:107], v[106:107], v[114:115]
	;; [unrolled: 1-line block ×5, first 2 shown]
	v_mul_f64 v[78:79], v[26:27], s[22:23]
	v_fma_f64 v[76:77], v[24:25], s[22:23], -v[76:77]
	v_mul_f64 v[10:11], v[10:11], s[26:27]
	v_add_f64 v[104:105], v[2:3], v[6:7]
	v_add_f64 v[108:109], v[2:3], -v[6:7]
	v_add_f64 v[94:95], v[94:95], v[102:103]
	v_add_f64 v[96:97], v[96:97], v[106:107]
	v_fma_f64 v[90:91], s[20:21], v[8:9], v[78:79]
	v_add_f64 v[88:89], v[76:77], v[88:89]
	v_fmac_f64_e32 v[78:79], s[24:25], v[8:9]
	v_fma_f64 v[76:77], s[34:35], v[24:25], v[10:11]
	v_mul_f64 v[26:27], v[26:27], s[34:35]
	v_add_f64 v[102:103], v[0:1], v[4:5]
	v_add_f64 v[106:107], v[0:1], -v[4:5]
	v_mul_f64 v[4:5], v[108:109], s[52:53]
	v_mul_f64 v[6:7], v[104:105], s[54:55]
	v_add_f64 v[92:93], v[78:79], v[94:95]
	v_add_f64 v[94:95], v[76:77], v[96:97]
	v_fma_f64 v[76:77], s[38:39], v[8:9], v[26:27]
	v_fmac_f64_e32 v[26:27], s[26:27], v[8:9]
	v_fma_f64 v[0:1], s[54:55], v[102:103], v[4:5]
	v_fma_f64 v[2:3], s[56:57], v[106:107], v[6:7]
	v_fma_f64 v[4:5], v[102:103], s[54:55], -v[4:5]
	v_mul_f64 v[8:9], v[108:109], s[36:37]
	v_add_f64 v[96:97], v[76:77], v[100:101]
	v_add_f64 v[100:101], v[26:27], v[16:17]
	;; [unrolled: 1-line block ×4, first 2 shown]
	v_fma_f64 v[4:5], s[30:31], v[102:103], v[8:9]
	v_mul_f64 v[16:17], v[108:109], s[46:47]
	v_mul_f64 v[34:35], v[108:109], s[40:41]
	v_fmac_f64_e32 v[6:7], s[52:53], v[106:107]
	v_add_f64 v[4:5], v[4:5], v[36:37]
	v_fma_f64 v[12:13], s[48:49], v[102:103], v[16:17]
	v_fma_f64 v[16:17], v[102:103], s[48:49], -v[16:17]
	v_fma_f64 v[36:37], s[42:43], v[102:103], v[34:35]
	v_fma_f64 v[34:35], v[102:103], s[42:43], -v[34:35]
	v_add_f64 v[78:79], v[6:7], v[28:29]
	v_add_f64 v[16:17], v[16:17], v[40:41]
	v_mul_f64 v[28:29], v[108:109], s[24:25]
	v_add_f64 v[40:41], v[34:35], v[56:57]
	v_mul_f64 v[34:35], v[108:109], s[18:19]
	v_fma_f64 v[10:11], v[24:25], s[34:35], -v[10:11]
	v_add_f64 v[12:13], v[12:13], v[44:45]
	v_fma_f64 v[24:25], s[22:23], v[102:103], v[28:29]
	v_fma_f64 v[28:29], v[102:103], s[22:23], -v[28:29]
	v_fma_f64 v[44:45], s[16:17], v[102:103], v[34:35]
	v_fma_f64 v[34:35], v[102:103], s[16:17], -v[34:35]
	v_add_f64 v[90:91], v[90:91], v[98:99]
	v_add_f64 v[98:99], v[10:11], v[18:19]
	v_mul_f64 v[18:19], v[104:105], s[48:49]
	v_add_f64 v[28:29], v[28:29], v[48:49]
	v_add_f64 v[48:49], v[34:35], v[64:65]
	v_mul_f64 v[34:35], v[108:109], s[26:27]
	v_add_f64 v[0:1], v[0:1], v[14:15]
	v_mul_f64 v[10:11], v[104:105], s[30:31]
	v_fma_f64 v[14:15], s[50:51], v[106:107], v[18:19]
	v_add_f64 v[24:25], v[24:25], v[52:53]
	v_fma_f64 v[52:53], s[34:35], v[102:103], v[34:35]
	v_fma_f64 v[34:35], v[102:103], s[34:35], -v[34:35]
	v_fma_f64 v[6:7], s[28:29], v[106:107], v[10:11]
	v_fma_f64 v[8:9], v[102:103], s[30:31], -v[8:9]
	v_add_f64 v[14:15], v[14:15], v[50:51]
	v_fmac_f64_e32 v[18:19], s[46:47], v[106:107]
	v_mul_f64 v[50:51], v[104:105], s[16:17]
	v_add_f64 v[56:57], v[34:35], v[88:89]
	v_mul_f64 v[34:35], v[108:109], s[10:11]
	v_add_f64 v[6:7], v[6:7], v[42:43]
	v_add_f64 v[8:9], v[8:9], v[30:31]
	v_fmac_f64_e32 v[10:11], s[36:37], v[106:107]
	v_add_f64 v[18:19], v[18:19], v[46:47]
	v_mul_f64 v[30:31], v[104:105], s[22:23]
	v_add_f64 v[36:37], v[36:37], v[60:61]
	v_mul_f64 v[42:43], v[104:105], s[42:43]
	v_fma_f64 v[46:47], s[12:13], v[106:107], v[50:51]
	v_fmac_f64_e32 v[50:51], s[18:19], v[106:107]
	v_fma_f64 v[60:61], s[8:9], v[102:103], v[34:35]
	v_add_f64 v[10:11], v[10:11], v[38:39]
	v_fma_f64 v[26:27], s[20:21], v[106:107], v[30:31]
	v_fma_f64 v[38:39], s[44:45], v[106:107], v[42:43]
	v_fmac_f64_e32 v[42:43], s[40:41], v[106:107]
	v_add_f64 v[50:51], v[50:51], v[80:81]
	v_add_f64 v[80:81], v[60:61], v[94:95]
	v_mul_f64 v[60:61], v[104:105], s[8:9]
	v_add_f64 v[26:27], v[26:27], v[58:59]
	v_fmac_f64_e32 v[30:31], s[24:25], v[106:107]
	v_add_f64 v[42:43], v[42:43], v[62:63]
	v_mul_f64 v[58:59], v[104:105], s[34:35]
	v_fma_f64 v[62:63], s[2:3], v[106:107], v[60:61]
	v_fma_f64 v[34:35], v[102:103], s[8:9], -v[34:35]
	v_fmac_f64_e32 v[60:61], s[10:11], v[106:107]
	v_add_f64 v[30:31], v[30:31], v[54:55]
	v_add_f64 v[44:45], v[44:45], v[82:83]
	;; [unrolled: 1-line block ×4, first 2 shown]
	v_fma_f64 v[54:55], s[38:39], v[106:107], v[58:59]
	v_fmac_f64_e32 v[58:59], s[26:27], v[106:107]
	v_add_f64 v[82:83], v[62:63], v[96:97]
	v_add_f64 v[84:85], v[34:35], v[98:99]
	;; [unrolled: 1-line block ×6, first 2 shown]
	s_barrier
	ds_write_b128 v21, v[72:75]
	ds_write_b128 v21, v[0:3] offset:544
	ds_write_b128 v21, v[4:7] offset:1088
	;; [unrolled: 1-line block ×16, first 2 shown]
	s_waitcnt lgkmcnt(0)
	s_barrier
	ds_read_b128 v[92:95], v23
	ds_read_b128 v[88:91], v23 offset:1088
	ds_read_b128 v[12:15], v23 offset:9248
	;; [unrolled: 1-line block ×15, first 2 shown]
	v_add_u32_e32 v17, 0x1980, v23
	v_add_u32_e32 v16, 0x1dc0, v23
	s_and_saveexec_b64 s[2:3], s[0:1]
	s_cbranch_execz .LBB0_15
; %bb.14:
	ds_read_b128 v[76:79], v23 offset:8704
	ds_read_b128 v[68:71], v23 offset:17952
.LBB0_15:
	s_or_b64 exec, exec, s[2:3]
	s_waitcnt lgkmcnt(13)
	v_mul_f64 v[18:19], v[170:171], v[14:15]
	v_fmac_f64_e32 v[18:19], v[168:169], v[12:13]
	v_mul_f64 v[12:13], v[170:171], v[12:13]
	v_fma_f64 v[14:15], v[168:169], v[14:15], -v[12:13]
	s_waitcnt lgkmcnt(12)
	v_mul_f64 v[12:13], v[174:175], v[120:121]
	v_fma_f64 v[30:31], v[172:173], v[122:123], -v[12:13]
	s_waitcnt lgkmcnt(9)
	v_mul_f64 v[12:13], v[178:179], v[116:117]
	v_fma_f64 v[42:43], v[176:177], v[118:119], -v[12:13]
	s_waitcnt lgkmcnt(8)
	v_mul_f64 v[12:13], v[182:183], v[112:113]
	v_fma_f64 v[50:51], v[180:181], v[114:115], -v[12:13]
	s_waitcnt lgkmcnt(5)
	v_mul_f64 v[12:13], v[186:187], v[108:109]
	v_fma_f64 v[58:59], v[184:185], v[110:111], -v[12:13]
	s_waitcnt lgkmcnt(4)
	v_mul_f64 v[12:13], v[190:191], v[104:105]
	v_mul_f64 v[28:29], v[174:175], v[122:123]
	;; [unrolled: 1-line block ×4, first 2 shown]
	v_fma_f64 v[62:63], v[188:189], v[106:107], -v[12:13]
	s_waitcnt lgkmcnt(1)
	v_mul_f64 v[64:65], v[194:195], v[102:103]
	v_mul_f64 v[12:13], v[194:195], v[100:101]
	v_fmac_f64_e32 v[28:29], v[172:173], v[120:121]
	v_fmac_f64_e32 v[34:35], v[176:177], v[116:117]
	;; [unrolled: 1-line block ×3, first 2 shown]
	v_mul_f64 v[56:57], v[186:187], v[110:111]
	v_mul_f64 v[60:61], v[190:191], v[106:107]
	v_fmac_f64_e32 v[64:65], v[192:193], v[100:101]
	v_fma_f64 v[66:67], v[192:193], v[102:103], -v[12:13]
	s_waitcnt lgkmcnt(0)
	v_mul_f64 v[100:101], v[198:199], v[98:99]
	v_mul_f64 v[12:13], v[198:199], v[96:97]
	v_fmac_f64_e32 v[56:57], v[184:185], v[108:109]
	v_fmac_f64_e32 v[60:61], v[188:189], v[104:105]
	;; [unrolled: 1-line block ×3, first 2 shown]
	v_fma_f64 v[96:97], v[196:197], v[98:99], -v[12:13]
	v_add_f64 v[12:13], v[92:93], -v[18:19]
	v_add_f64 v[14:15], v[94:95], -v[14:15]
	;; [unrolled: 1-line block ×8, first 2 shown]
	v_fma_f64 v[24:25], v[92:93], 2.0, -v[12:13]
	v_fma_f64 v[26:27], v[94:95], 2.0, -v[14:15]
	v_fma_f64 v[36:37], v[88:89], 2.0, -v[28:29]
	v_fma_f64 v[38:39], v[90:91], 2.0, -v[30:31]
	v_fma_f64 v[44:45], v[84:85], 2.0, -v[40:41]
	v_fma_f64 v[46:47], v[86:87], 2.0, -v[42:43]
	v_fma_f64 v[52:53], v[80:81], 2.0, -v[48:49]
	v_fma_f64 v[54:55], v[82:83], 2.0, -v[50:51]
	v_add_f64 v[56:57], v[72:73], -v[56:57]
	v_add_f64 v[58:59], v[74:75], -v[58:59]
	v_add_f64 v[80:81], v[8:9], -v[60:61]
	v_add_f64 v[82:83], v[10:11], -v[62:63]
	v_add_f64 v[84:85], v[4:5], -v[64:65]
	v_add_f64 v[86:87], v[6:7], -v[66:67]
	v_add_f64 v[88:89], v[0:1], -v[100:101]
	v_add_f64 v[90:91], v[2:3], -v[96:97]
	v_fma_f64 v[72:73], v[72:73], 2.0, -v[56:57]
	v_fma_f64 v[74:75], v[74:75], 2.0, -v[58:59]
	;; [unrolled: 1-line block ×8, first 2 shown]
	ds_write_b128 v23, v[24:27]
	ds_write_b128 v33, v[12:15] offset:9248
	ds_write_b128 v23, v[36:39] offset:1088
	;; [unrolled: 1-line block ×15, first 2 shown]
	s_and_saveexec_b64 s[2:3], s[0:1]
	s_cbranch_execz .LBB0_17
; %bb.16:
	v_accvgpr_read_b32 v8, a98
	v_accvgpr_read_b32 v10, a100
	v_accvgpr_read_b32 v11, a101
	v_accvgpr_read_b32 v9, a99
	v_mul_f64 v[0:1], v[10:11], v[68:69]
	v_fma_f64 v[0:1], v[8:9], v[70:71], -v[0:1]
	v_add_f64 v[2:3], v[78:79], -v[0:1]
	v_mul_f64 v[0:1], v[10:11], v[70:71]
	v_fmac_f64_e32 v[0:1], v[8:9], v[68:69]
	v_add_f64 v[0:1], v[76:77], -v[0:1]
	v_fma_f64 v[6:7], v[78:79], 2.0, -v[2:3]
	v_fma_f64 v[4:5], v[76:77], 2.0, -v[0:1]
	ds_write_b128 v23, v[4:7] offset:8704
	ds_write_b128 v33, v[0:3] offset:17952
.LBB0_17:
	s_or_b64 exec, exec, s[2:3]
	s_waitcnt lgkmcnt(0)
	s_barrier
	ds_read_b128 v[0:3], v23
	v_mad_u64_u32 v[14:15], s[0:1], s6, v22, 0
	v_mov_b32_e32 v4, v15
	v_accvgpr_read_b32 v19, a3
	v_mad_u64_u32 v[4:5], s[0:1], s7, v22, v[4:5]
	v_accvgpr_read_b32 v18, a2
	v_mov_b32_e32 v15, v4
	ds_read_b128 v[4:7], v23 offset:1088
	v_accvgpr_read_b32 v17, a1
	v_accvgpr_read_b32 v16, a0
	s_waitcnt lgkmcnt(1)
	v_mul_f64 v[8:9], v[18:19], v[2:3]
	v_fmac_f64_e32 v[8:9], v[16:17], v[0:1]
	s_mov_b32 s0, 0xd10d4986
	v_mul_f64 v[0:1], v[18:19], v[0:1]
	s_mov_b32 s1, 0x3f4c5894
	v_fma_f64 v[0:1], v[16:17], v[2:3], -v[0:1]
	v_mul_f64 v[10:11], v[0:1], s[0:1]
	v_mad_u64_u32 v[0:1], s[2:3], s4, v20, 0
	v_mov_b32_e32 v2, v1
	v_mov_b32_e32 v12, s14
	;; [unrolled: 1-line block ×3, first 2 shown]
	v_mad_u64_u32 v[2:3], s[2:3], s5, v20, v[2:3]
	v_mov_b32_e32 v1, v2
	v_lshl_add_u64 v[2:3], v[14:15], 4, v[12:13]
	v_mul_f64 v[8:9], v[8:9], s[0:1]
	v_lshl_add_u64 v[12:13], v[0:1], 4, v[2:3]
	global_store_dwordx4 v[12:13], v[8:11], off
	v_mov_b32_e32 v14, 0x440
	v_mad_u64_u32 v[12:13], s[2:3], s4, v14, v[12:13]
	v_accvgpr_read_b32 v8, a64
	v_accvgpr_read_b32 v10, a66
	;; [unrolled: 1-line block ×4, first 2 shown]
	s_waitcnt lgkmcnt(0)
	v_mul_f64 v[0:1], v[10:11], v[6:7]
	v_mul_f64 v[2:3], v[10:11], v[4:5]
	v_fmac_f64_e32 v[0:1], v[8:9], v[4:5]
	v_fma_f64 v[2:3], v[8:9], v[6:7], -v[2:3]
	ds_read_b128 v[4:7], v23 offset:2176
	s_mul_i32 s2, s5, 0x440
	v_accvgpr_read_b32 v16, a60
	v_mul_f64 v[0:1], v[0:1], s[0:1]
	v_mul_f64 v[2:3], v[2:3], s[0:1]
	v_add_u32_e32 v13, s2, v13
	v_accvgpr_read_b32 v18, a62
	v_accvgpr_read_b32 v19, a63
	global_store_dwordx4 v[12:13], v[0:3], off
	ds_read_b128 v[0:3], v23 offset:3264
	v_accvgpr_read_b32 v17, a61
	s_waitcnt lgkmcnt(1)
	v_mul_f64 v[8:9], v[18:19], v[6:7]
	v_fmac_f64_e32 v[8:9], v[16:17], v[4:5]
	v_mul_f64 v[4:5], v[18:19], v[4:5]
	v_fma_f64 v[4:5], v[16:17], v[6:7], -v[4:5]
	v_mad_u64_u32 v[12:13], s[6:7], s4, v14, v[12:13]
	v_mul_f64 v[8:9], v[8:9], s[0:1]
	v_mul_f64 v[10:11], v[4:5], s[0:1]
	v_add_u32_e32 v13, s2, v13
	global_store_dwordx4 v[12:13], v[8:11], off
	v_accvgpr_read_b32 v6, a56
	v_accvgpr_read_b32 v7, a57
	;; [unrolled: 1-line block ×4, first 2 shown]
	s_waitcnt lgkmcnt(0)
	v_mul_f64 v[4:5], v[8:9], v[2:3]
	v_fmac_f64_e32 v[4:5], v[6:7], v[0:1]
	v_mul_f64 v[0:1], v[8:9], v[0:1]
	v_fma_f64 v[0:1], v[6:7], v[2:3], -v[0:1]
	v_mul_f64 v[6:7], v[0:1], s[0:1]
	ds_read_b128 v[0:3], v23 offset:4352
	v_mad_u64_u32 v[12:13], s[6:7], s4, v14, v[12:13]
	v_accvgpr_read_b32 v16, a52
	v_mul_f64 v[4:5], v[4:5], s[0:1]
	v_add_u32_e32 v13, s2, v13
	v_accvgpr_read_b32 v18, a54
	v_accvgpr_read_b32 v19, a55
	global_store_dwordx4 v[12:13], v[4:7], off
	ds_read_b128 v[4:7], v23 offset:5440
	v_accvgpr_read_b32 v17, a53
	s_waitcnt lgkmcnt(1)
	v_mul_f64 v[8:9], v[18:19], v[2:3]
	v_fmac_f64_e32 v[8:9], v[16:17], v[0:1]
	v_mul_f64 v[0:1], v[18:19], v[0:1]
	v_fma_f64 v[0:1], v[16:17], v[2:3], -v[0:1]
	v_mad_u64_u32 v[12:13], s[6:7], s4, v14, v[12:13]
	v_mul_f64 v[8:9], v[8:9], s[0:1]
	v_mul_f64 v[10:11], v[0:1], s[0:1]
	v_add_u32_e32 v13, s2, v13
	global_store_dwordx4 v[12:13], v[8:11], off
	v_mad_u64_u32 v[12:13], s[6:7], s4, v14, v[12:13]
	s_nop 0
	v_accvgpr_read_b32 v8, a48
	v_accvgpr_read_b32 v10, a50
	;; [unrolled: 1-line block ×4, first 2 shown]
	s_waitcnt lgkmcnt(0)
	v_mul_f64 v[0:1], v[10:11], v[6:7]
	v_mul_f64 v[2:3], v[10:11], v[4:5]
	v_fmac_f64_e32 v[0:1], v[8:9], v[4:5]
	v_fma_f64 v[2:3], v[8:9], v[6:7], -v[2:3]
	ds_read_b128 v[4:7], v23 offset:6528
	v_accvgpr_read_b32 v16, a32
	v_mul_f64 v[0:1], v[0:1], s[0:1]
	v_mul_f64 v[2:3], v[2:3], s[0:1]
	v_add_u32_e32 v13, s2, v13
	v_accvgpr_read_b32 v18, a34
	v_accvgpr_read_b32 v19, a35
	global_store_dwordx4 v[12:13], v[0:3], off
	ds_read_b128 v[0:3], v23 offset:7616
	v_accvgpr_read_b32 v17, a33
	s_waitcnt lgkmcnt(1)
	v_mul_f64 v[8:9], v[18:19], v[6:7]
	v_fmac_f64_e32 v[8:9], v[16:17], v[4:5]
	v_mul_f64 v[4:5], v[18:19], v[4:5]
	v_fma_f64 v[4:5], v[16:17], v[6:7], -v[4:5]
	v_mad_u64_u32 v[12:13], s[6:7], s4, v14, v[12:13]
	v_mul_f64 v[8:9], v[8:9], s[0:1]
	v_mul_f64 v[10:11], v[4:5], s[0:1]
	v_add_u32_e32 v13, s2, v13
	global_store_dwordx4 v[12:13], v[8:11], off
	v_accvgpr_read_b32 v6, a12
	v_accvgpr_read_b32 v7, a13
	;; [unrolled: 1-line block ×4, first 2 shown]
	s_waitcnt lgkmcnt(0)
	v_mul_f64 v[4:5], v[8:9], v[2:3]
	v_fmac_f64_e32 v[4:5], v[6:7], v[0:1]
	v_mul_f64 v[0:1], v[8:9], v[0:1]
	v_fma_f64 v[0:1], v[6:7], v[2:3], -v[0:1]
	v_mul_f64 v[6:7], v[0:1], s[0:1]
	ds_read_b128 v[0:3], v23 offset:8704
	v_mad_u64_u32 v[12:13], s[6:7], s4, v14, v[12:13]
	v_accvgpr_read_b32 v19, a7
	v_mul_f64 v[4:5], v[4:5], s[0:1]
	v_add_u32_e32 v13, s2, v13
	v_accvgpr_read_b32 v18, a6
	global_store_dwordx4 v[12:13], v[4:7], off
	ds_read_b128 v[4:7], v23 offset:9792
	v_accvgpr_read_b32 v17, a5
	v_accvgpr_read_b32 v16, a4
	s_waitcnt lgkmcnt(1)
	v_mul_f64 v[8:9], v[18:19], v[2:3]
	v_fmac_f64_e32 v[8:9], v[16:17], v[0:1]
	v_mul_f64 v[0:1], v[18:19], v[0:1]
	v_fma_f64 v[0:1], v[16:17], v[2:3], -v[0:1]
	v_mad_u64_u32 v[12:13], s[6:7], s4, v14, v[12:13]
	v_mul_f64 v[8:9], v[8:9], s[0:1]
	v_mul_f64 v[10:11], v[0:1], s[0:1]
	v_add_u32_e32 v13, s2, v13
	global_store_dwordx4 v[12:13], v[8:11], off
	v_mad_u64_u32 v[12:13], s[6:7], s4, v14, v[12:13]
	s_nop 0
	v_accvgpr_read_b32 v8, a8
	v_accvgpr_read_b32 v10, a10
	;; [unrolled: 1-line block ×4, first 2 shown]
	s_waitcnt lgkmcnt(0)
	v_mul_f64 v[0:1], v[10:11], v[6:7]
	v_mul_f64 v[2:3], v[10:11], v[4:5]
	v_fmac_f64_e32 v[0:1], v[8:9], v[4:5]
	v_fma_f64 v[2:3], v[8:9], v[6:7], -v[2:3]
	ds_read_b128 v[4:7], v23 offset:10880
	v_accvgpr_read_b32 v16, a36
	v_mul_f64 v[0:1], v[0:1], s[0:1]
	v_mul_f64 v[2:3], v[2:3], s[0:1]
	v_add_u32_e32 v13, s2, v13
	v_accvgpr_read_b32 v18, a38
	v_accvgpr_read_b32 v19, a39
	global_store_dwordx4 v[12:13], v[0:3], off
	ds_read_b128 v[0:3], v23 offset:11968
	v_accvgpr_read_b32 v17, a37
	s_waitcnt lgkmcnt(1)
	v_mul_f64 v[8:9], v[18:19], v[6:7]
	v_fmac_f64_e32 v[8:9], v[16:17], v[4:5]
	v_mul_f64 v[4:5], v[18:19], v[4:5]
	v_fma_f64 v[4:5], v[16:17], v[6:7], -v[4:5]
	v_mad_u64_u32 v[12:13], s[6:7], s4, v14, v[12:13]
	v_mul_f64 v[8:9], v[8:9], s[0:1]
	v_mul_f64 v[10:11], v[4:5], s[0:1]
	v_add_u32_e32 v13, s2, v13
	global_store_dwordx4 v[12:13], v[8:11], off
	v_accvgpr_read_b32 v6, a16
	v_accvgpr_read_b32 v7, a17
	;; [unrolled: 1-line block ×4, first 2 shown]
	s_waitcnt lgkmcnt(0)
	v_mul_f64 v[4:5], v[8:9], v[2:3]
	v_fmac_f64_e32 v[4:5], v[6:7], v[0:1]
	v_mul_f64 v[0:1], v[8:9], v[0:1]
	v_fma_f64 v[0:1], v[6:7], v[2:3], -v[0:1]
	v_mul_f64 v[6:7], v[0:1], s[0:1]
	ds_read_b128 v[0:3], v23 offset:13056
	v_mad_u64_u32 v[12:13], s[6:7], s4, v14, v[12:13]
	v_accvgpr_read_b32 v16, a44
	v_mul_f64 v[4:5], v[4:5], s[0:1]
	v_add_u32_e32 v13, s2, v13
	v_accvgpr_read_b32 v18, a46
	v_accvgpr_read_b32 v19, a47
	global_store_dwordx4 v[12:13], v[4:7], off
	ds_read_b128 v[4:7], v23 offset:14144
	v_accvgpr_read_b32 v17, a45
	s_waitcnt lgkmcnt(1)
	v_mul_f64 v[8:9], v[18:19], v[2:3]
	v_fmac_f64_e32 v[8:9], v[16:17], v[0:1]
	v_mul_f64 v[0:1], v[18:19], v[0:1]
	v_fma_f64 v[0:1], v[16:17], v[2:3], -v[0:1]
	v_mad_u64_u32 v[12:13], s[6:7], s4, v14, v[12:13]
	v_mul_f64 v[8:9], v[8:9], s[0:1]
	v_mul_f64 v[10:11], v[0:1], s[0:1]
	v_add_u32_e32 v13, s2, v13
	global_store_dwordx4 v[12:13], v[8:11], off
	v_mad_u64_u32 v[12:13], s[6:7], s4, v14, v[12:13]
	s_nop 0
	v_accvgpr_read_b32 v8, a24
	v_accvgpr_read_b32 v10, a26
	;; [unrolled: 1-line block ×4, first 2 shown]
	s_waitcnt lgkmcnt(0)
	v_mul_f64 v[0:1], v[10:11], v[6:7]
	v_mul_f64 v[2:3], v[10:11], v[4:5]
	v_fmac_f64_e32 v[0:1], v[8:9], v[4:5]
	v_fma_f64 v[2:3], v[8:9], v[6:7], -v[2:3]
	ds_read_b128 v[4:7], v23 offset:15232
	v_accvgpr_read_b32 v16, a40
	v_mul_f64 v[0:1], v[0:1], s[0:1]
	v_mul_f64 v[2:3], v[2:3], s[0:1]
	v_add_u32_e32 v13, s2, v13
	v_accvgpr_read_b32 v18, a42
	v_accvgpr_read_b32 v19, a43
	global_store_dwordx4 v[12:13], v[0:3], off
	ds_read_b128 v[0:3], v23 offset:16320
	v_accvgpr_read_b32 v17, a41
	s_waitcnt lgkmcnt(1)
	v_mul_f64 v[8:9], v[18:19], v[6:7]
	v_fmac_f64_e32 v[8:9], v[16:17], v[4:5]
	v_mul_f64 v[4:5], v[18:19], v[4:5]
	v_fma_f64 v[4:5], v[16:17], v[6:7], -v[4:5]
	v_mad_u64_u32 v[12:13], s[6:7], s4, v14, v[12:13]
	v_mul_f64 v[8:9], v[8:9], s[0:1]
	v_mul_f64 v[10:11], v[4:5], s[0:1]
	v_add_u32_e32 v13, s2, v13
	global_store_dwordx4 v[12:13], v[8:11], off
	v_accvgpr_read_b32 v6, a20
	v_accvgpr_read_b32 v7, a21
	;; [unrolled: 1-line block ×4, first 2 shown]
	s_waitcnt lgkmcnt(0)
	v_mul_f64 v[4:5], v[8:9], v[2:3]
	v_fmac_f64_e32 v[4:5], v[6:7], v[0:1]
	v_mul_f64 v[0:1], v[8:9], v[0:1]
	v_fma_f64 v[0:1], v[6:7], v[2:3], -v[0:1]
	v_mul_f64 v[6:7], v[0:1], s[0:1]
	ds_read_b128 v[0:3], v23 offset:17408
	v_mad_u64_u32 v[8:9], s[6:7], s4, v14, v[12:13]
	v_accvgpr_read_b32 v10, a28
	v_mul_f64 v[4:5], v[4:5], s[0:1]
	v_add_u32_e32 v9, s2, v9
	v_accvgpr_read_b32 v12, a30
	v_accvgpr_read_b32 v13, a31
	global_store_dwordx4 v[8:9], v[4:7], off
	v_accvgpr_read_b32 v11, a29
	s_waitcnt lgkmcnt(0)
	v_mul_f64 v[4:5], v[12:13], v[2:3]
	v_fmac_f64_e32 v[4:5], v[10:11], v[0:1]
	v_mul_f64 v[0:1], v[12:13], v[0:1]
	v_fma_f64 v[0:1], v[10:11], v[2:3], -v[0:1]
	v_mul_f64 v[4:5], v[4:5], s[0:1]
	v_mul_f64 v[6:7], v[0:1], s[0:1]
	v_mad_u64_u32 v[0:1], s[0:1], s4, v14, v[8:9]
	v_add_u32_e32 v1, s2, v1
	global_store_dwordx4 v[0:1], v[4:7], off
.LBB0_18:
	s_endpgm
	.section	.rodata,"a",@progbits
	.p2align	6, 0x0
	.amdhsa_kernel bluestein_single_fwd_len1156_dim1_dp_op_CI_CI
		.amdhsa_group_segment_fixed_size 55488
		.amdhsa_private_segment_fixed_size 0
		.amdhsa_kernarg_size 104
		.amdhsa_user_sgpr_count 2
		.amdhsa_user_sgpr_dispatch_ptr 0
		.amdhsa_user_sgpr_queue_ptr 0
		.amdhsa_user_sgpr_kernarg_segment_ptr 1
		.amdhsa_user_sgpr_dispatch_id 0
		.amdhsa_user_sgpr_kernarg_preload_length 0
		.amdhsa_user_sgpr_kernarg_preload_offset 0
		.amdhsa_user_sgpr_private_segment_size 0
		.amdhsa_uses_dynamic_stack 0
		.amdhsa_enable_private_segment 0
		.amdhsa_system_sgpr_workgroup_id_x 1
		.amdhsa_system_sgpr_workgroup_id_y 0
		.amdhsa_system_sgpr_workgroup_id_z 0
		.amdhsa_system_sgpr_workgroup_info 0
		.amdhsa_system_vgpr_workitem_id 0
		.amdhsa_next_free_vgpr 358
		.amdhsa_next_free_sgpr 58
		.amdhsa_accum_offset 256
		.amdhsa_reserve_vcc 1
		.amdhsa_float_round_mode_32 0
		.amdhsa_float_round_mode_16_64 0
		.amdhsa_float_denorm_mode_32 3
		.amdhsa_float_denorm_mode_16_64 3
		.amdhsa_dx10_clamp 1
		.amdhsa_ieee_mode 1
		.amdhsa_fp16_overflow 0
		.amdhsa_tg_split 0
		.amdhsa_exception_fp_ieee_invalid_op 0
		.amdhsa_exception_fp_denorm_src 0
		.amdhsa_exception_fp_ieee_div_zero 0
		.amdhsa_exception_fp_ieee_overflow 0
		.amdhsa_exception_fp_ieee_underflow 0
		.amdhsa_exception_fp_ieee_inexact 0
		.amdhsa_exception_int_div_zero 0
	.end_amdhsa_kernel
	.text
.Lfunc_end0:
	.size	bluestein_single_fwd_len1156_dim1_dp_op_CI_CI, .Lfunc_end0-bluestein_single_fwd_len1156_dim1_dp_op_CI_CI
                                        ; -- End function
	.section	.AMDGPU.csdata,"",@progbits
; Kernel info:
; codeLenInByte = 35020
; NumSgprs: 64
; NumVgprs: 256
; NumAgprs: 102
; TotalNumVgprs: 358
; ScratchSize: 0
; MemoryBound: 0
; FloatMode: 240
; IeeeMode: 1
; LDSByteSize: 55488 bytes/workgroup (compile time only)
; SGPRBlocks: 7
; VGPRBlocks: 44
; NumSGPRsForWavesPerEU: 64
; NumVGPRsForWavesPerEU: 358
; AccumOffset: 256
; Occupancy: 1
; WaveLimiterHint : 1
; COMPUTE_PGM_RSRC2:SCRATCH_EN: 0
; COMPUTE_PGM_RSRC2:USER_SGPR: 2
; COMPUTE_PGM_RSRC2:TRAP_HANDLER: 0
; COMPUTE_PGM_RSRC2:TGID_X_EN: 1
; COMPUTE_PGM_RSRC2:TGID_Y_EN: 0
; COMPUTE_PGM_RSRC2:TGID_Z_EN: 0
; COMPUTE_PGM_RSRC2:TIDIG_COMP_CNT: 0
; COMPUTE_PGM_RSRC3_GFX90A:ACCUM_OFFSET: 63
; COMPUTE_PGM_RSRC3_GFX90A:TG_SPLIT: 0
	.text
	.p2alignl 6, 3212836864
	.fill 256, 4, 3212836864
	.type	__hip_cuid_21f0fbfa78580769,@object ; @__hip_cuid_21f0fbfa78580769
	.section	.bss,"aw",@nobits
	.globl	__hip_cuid_21f0fbfa78580769
__hip_cuid_21f0fbfa78580769:
	.byte	0                               ; 0x0
	.size	__hip_cuid_21f0fbfa78580769, 1

	.ident	"AMD clang version 19.0.0git (https://github.com/RadeonOpenCompute/llvm-project roc-6.4.0 25133 c7fe45cf4b819c5991fe208aaa96edf142730f1d)"
	.section	".note.GNU-stack","",@progbits
	.addrsig
	.addrsig_sym __hip_cuid_21f0fbfa78580769
	.amdgpu_metadata
---
amdhsa.kernels:
  - .agpr_count:     102
    .args:
      - .actual_access:  read_only
        .address_space:  global
        .offset:         0
        .size:           8
        .value_kind:     global_buffer
      - .actual_access:  read_only
        .address_space:  global
        .offset:         8
        .size:           8
        .value_kind:     global_buffer
      - .actual_access:  read_only
        .address_space:  global
        .offset:         16
        .size:           8
        .value_kind:     global_buffer
      - .actual_access:  read_only
        .address_space:  global
        .offset:         24
        .size:           8
        .value_kind:     global_buffer
      - .actual_access:  read_only
        .address_space:  global
        .offset:         32
        .size:           8
        .value_kind:     global_buffer
      - .offset:         40
        .size:           8
        .value_kind:     by_value
      - .address_space:  global
        .offset:         48
        .size:           8
        .value_kind:     global_buffer
      - .address_space:  global
        .offset:         56
        .size:           8
        .value_kind:     global_buffer
      - .address_space:  global
        .offset:         64
        .size:           8
        .value_kind:     global_buffer
      - .address_space:  global
        .offset:         72
        .size:           8
        .value_kind:     global_buffer
      - .offset:         80
        .size:           4
        .value_kind:     by_value
      - .address_space:  global
        .offset:         88
        .size:           8
        .value_kind:     global_buffer
      - .address_space:  global
        .offset:         96
        .size:           8
        .value_kind:     global_buffer
    .group_segment_fixed_size: 55488
    .kernarg_segment_align: 8
    .kernarg_segment_size: 104
    .language:       OpenCL C
    .language_version:
      - 2
      - 0
    .max_flat_workgroup_size: 204
    .name:           bluestein_single_fwd_len1156_dim1_dp_op_CI_CI
    .private_segment_fixed_size: 0
    .sgpr_count:     64
    .sgpr_spill_count: 0
    .symbol:         bluestein_single_fwd_len1156_dim1_dp_op_CI_CI.kd
    .uniform_work_group_size: 1
    .uses_dynamic_stack: false
    .vgpr_count:     358
    .vgpr_spill_count: 0
    .wavefront_size: 64
amdhsa.target:   amdgcn-amd-amdhsa--gfx950
amdhsa.version:
  - 1
  - 2
...

	.end_amdgpu_metadata
